;; amdgpu-corpus repo=ROCm/rocFFT kind=compiled arch=gfx1030 opt=O3
	.text
	.amdgcn_target "amdgcn-amd-amdhsa--gfx1030"
	.amdhsa_code_object_version 6
	.protected	fft_rtc_fwd_len1360_factors_17_5_16_wgs_255_tpt_85_halfLds_dp_ip_CI_unitstride_sbrr_C2R_dirReg ; -- Begin function fft_rtc_fwd_len1360_factors_17_5_16_wgs_255_tpt_85_halfLds_dp_ip_CI_unitstride_sbrr_C2R_dirReg
	.globl	fft_rtc_fwd_len1360_factors_17_5_16_wgs_255_tpt_85_halfLds_dp_ip_CI_unitstride_sbrr_C2R_dirReg
	.p2align	8
	.type	fft_rtc_fwd_len1360_factors_17_5_16_wgs_255_tpt_85_halfLds_dp_ip_CI_unitstride_sbrr_C2R_dirReg,@function
fft_rtc_fwd_len1360_factors_17_5_16_wgs_255_tpt_85_halfLds_dp_ip_CI_unitstride_sbrr_C2R_dirReg: ; @fft_rtc_fwd_len1360_factors_17_5_16_wgs_255_tpt_85_halfLds_dp_ip_CI_unitstride_sbrr_C2R_dirReg
; %bb.0:
	s_load_dwordx4 s[8:11], s[4:5], 0x0
	v_mul_u32_u24_e32 v1, 0x304, v0
	s_clause 0x1
	s_load_dwordx2 s[2:3], s[4:5], 0x50
	s_load_dwordx2 s[12:13], s[4:5], 0x18
	v_mov_b32_e32 v5, 0
	v_mov_b32_e32 v3, 0
	;; [unrolled: 1-line block ×3, first 2 shown]
	v_lshrrev_b32_e32 v1, 16, v1
	v_mad_u64_u32 v[1:2], null, s6, 3, v[1:2]
	v_mov_b32_e32 v2, v5
	v_mov_b32_e32 v10, v2
	;; [unrolled: 1-line block ×3, first 2 shown]
	s_waitcnt lgkmcnt(0)
	v_cmp_lt_u64_e64 s0, s[10:11], 2
	s_and_b32 vcc_lo, exec_lo, s0
	s_cbranch_vccnz .LBB0_8
; %bb.1:
	s_load_dwordx2 s[0:1], s[4:5], 0x10
	v_mov_b32_e32 v3, 0
	v_mov_b32_e32 v8, v2
	s_add_u32 s6, s12, 8
	v_mov_b32_e32 v4, 0
	v_mov_b32_e32 v7, v1
	s_addc_u32 s7, s13, 0
	s_mov_b64 s[16:17], 1
	s_waitcnt lgkmcnt(0)
	s_add_u32 s14, s0, 8
	s_addc_u32 s15, s1, 0
.LBB0_2:                                ; =>This Inner Loop Header: Depth=1
	s_load_dwordx2 s[18:19], s[14:15], 0x0
                                        ; implicit-def: $vgpr9_vgpr10
	s_mov_b32 s0, exec_lo
	s_waitcnt lgkmcnt(0)
	v_or_b32_e32 v6, s19, v8
	v_cmpx_ne_u64_e32 0, v[5:6]
	s_xor_b32 s1, exec_lo, s0
	s_cbranch_execz .LBB0_4
; %bb.3:                                ;   in Loop: Header=BB0_2 Depth=1
	v_cvt_f32_u32_e32 v2, s18
	v_cvt_f32_u32_e32 v6, s19
	s_sub_u32 s0, 0, s18
	s_subb_u32 s20, 0, s19
	v_fmac_f32_e32 v2, 0x4f800000, v6
	v_rcp_f32_e32 v2, v2
	v_mul_f32_e32 v2, 0x5f7ffffc, v2
	v_mul_f32_e32 v6, 0x2f800000, v2
	v_trunc_f32_e32 v6, v6
	v_fmac_f32_e32 v2, 0xcf800000, v6
	v_cvt_u32_f32_e32 v6, v6
	v_cvt_u32_f32_e32 v2, v2
	v_mul_lo_u32 v9, s0, v6
	v_mul_hi_u32 v10, s0, v2
	v_mul_lo_u32 v11, s20, v2
	v_add_nc_u32_e32 v9, v10, v9
	v_mul_lo_u32 v10, s0, v2
	v_add_nc_u32_e32 v9, v9, v11
	v_mul_hi_u32 v11, v2, v10
	v_mul_lo_u32 v12, v2, v9
	v_mul_hi_u32 v13, v2, v9
	v_mul_hi_u32 v14, v6, v10
	v_mul_lo_u32 v10, v6, v10
	v_mul_hi_u32 v15, v6, v9
	v_mul_lo_u32 v9, v6, v9
	v_add_co_u32 v11, vcc_lo, v11, v12
	v_add_co_ci_u32_e32 v12, vcc_lo, 0, v13, vcc_lo
	v_add_co_u32 v10, vcc_lo, v11, v10
	v_add_co_ci_u32_e32 v10, vcc_lo, v12, v14, vcc_lo
	v_add_co_ci_u32_e32 v11, vcc_lo, 0, v15, vcc_lo
	v_add_co_u32 v9, vcc_lo, v10, v9
	v_add_co_ci_u32_e32 v10, vcc_lo, 0, v11, vcc_lo
	v_add_co_u32 v2, vcc_lo, v2, v9
	v_add_co_ci_u32_e32 v6, vcc_lo, v6, v10, vcc_lo
	v_mul_hi_u32 v9, s0, v2
	v_mul_lo_u32 v11, s20, v2
	v_mul_lo_u32 v10, s0, v6
	v_add_nc_u32_e32 v9, v9, v10
	v_mul_lo_u32 v10, s0, v2
	v_add_nc_u32_e32 v9, v9, v11
	v_mul_hi_u32 v11, v2, v10
	v_mul_lo_u32 v12, v2, v9
	v_mul_hi_u32 v13, v2, v9
	v_mul_hi_u32 v14, v6, v10
	v_mul_lo_u32 v10, v6, v10
	v_mul_hi_u32 v15, v6, v9
	v_mul_lo_u32 v9, v6, v9
	v_add_co_u32 v11, vcc_lo, v11, v12
	v_add_co_ci_u32_e32 v12, vcc_lo, 0, v13, vcc_lo
	v_add_co_u32 v10, vcc_lo, v11, v10
	v_add_co_ci_u32_e32 v10, vcc_lo, v12, v14, vcc_lo
	v_add_co_ci_u32_e32 v11, vcc_lo, 0, v15, vcc_lo
	v_add_co_u32 v9, vcc_lo, v10, v9
	v_add_co_ci_u32_e32 v10, vcc_lo, 0, v11, vcc_lo
	v_add_co_u32 v2, vcc_lo, v2, v9
	v_add_co_ci_u32_e32 v6, vcc_lo, v6, v10, vcc_lo
	v_mul_hi_u32 v15, v7, v2
	v_mad_u64_u32 v[11:12], null, v8, v2, 0
	v_mad_u64_u32 v[9:10], null, v7, v6, 0
	v_mad_u64_u32 v[13:14], null, v8, v6, 0
	v_add_co_u32 v2, vcc_lo, v15, v9
	v_add_co_ci_u32_e32 v6, vcc_lo, 0, v10, vcc_lo
	v_add_co_u32 v2, vcc_lo, v2, v11
	v_add_co_ci_u32_e32 v2, vcc_lo, v6, v12, vcc_lo
	v_add_co_ci_u32_e32 v6, vcc_lo, 0, v14, vcc_lo
	v_add_co_u32 v2, vcc_lo, v2, v13
	v_add_co_ci_u32_e32 v6, vcc_lo, 0, v6, vcc_lo
	v_mul_lo_u32 v11, s19, v2
	v_mad_u64_u32 v[9:10], null, s18, v2, 0
	v_mul_lo_u32 v12, s18, v6
	v_sub_co_u32 v9, vcc_lo, v7, v9
	v_add3_u32 v10, v10, v12, v11
	v_sub_nc_u32_e32 v11, v8, v10
	v_subrev_co_ci_u32_e64 v11, s0, s19, v11, vcc_lo
	v_add_co_u32 v12, s0, v2, 2
	v_add_co_ci_u32_e64 v13, s0, 0, v6, s0
	v_sub_co_u32 v14, s0, v9, s18
	v_sub_co_ci_u32_e32 v10, vcc_lo, v8, v10, vcc_lo
	v_subrev_co_ci_u32_e64 v11, s0, 0, v11, s0
	v_cmp_le_u32_e32 vcc_lo, s18, v14
	v_cmp_eq_u32_e64 s0, s19, v10
	v_cndmask_b32_e64 v14, 0, -1, vcc_lo
	v_cmp_le_u32_e32 vcc_lo, s19, v11
	v_cndmask_b32_e64 v15, 0, -1, vcc_lo
	v_cmp_le_u32_e32 vcc_lo, s18, v9
	;; [unrolled: 2-line block ×3, first 2 shown]
	v_cndmask_b32_e64 v16, 0, -1, vcc_lo
	v_cmp_eq_u32_e32 vcc_lo, s19, v11
	v_cndmask_b32_e64 v9, v16, v9, s0
	v_cndmask_b32_e32 v11, v15, v14, vcc_lo
	v_add_co_u32 v14, vcc_lo, v2, 1
	v_add_co_ci_u32_e32 v15, vcc_lo, 0, v6, vcc_lo
	v_cmp_ne_u32_e32 vcc_lo, 0, v11
	v_cndmask_b32_e32 v10, v15, v13, vcc_lo
	v_cndmask_b32_e32 v11, v14, v12, vcc_lo
	v_cmp_ne_u32_e32 vcc_lo, 0, v9
	v_cndmask_b32_e32 v10, v6, v10, vcc_lo
	v_cndmask_b32_e32 v9, v2, v11, vcc_lo
.LBB0_4:                                ;   in Loop: Header=BB0_2 Depth=1
	s_andn2_saveexec_b32 s0, s1
	s_cbranch_execz .LBB0_6
; %bb.5:                                ;   in Loop: Header=BB0_2 Depth=1
	v_cvt_f32_u32_e32 v2, s18
	s_sub_i32 s1, 0, s18
	v_rcp_iflag_f32_e32 v2, v2
	v_mul_f32_e32 v2, 0x4f7ffffe, v2
	v_cvt_u32_f32_e32 v2, v2
	v_mul_lo_u32 v6, s1, v2
	v_mul_hi_u32 v6, v2, v6
	v_add_nc_u32_e32 v2, v2, v6
	v_mul_hi_u32 v2, v7, v2
	v_mul_lo_u32 v6, v2, s18
	v_add_nc_u32_e32 v9, 1, v2
	v_sub_nc_u32_e32 v6, v7, v6
	v_subrev_nc_u32_e32 v10, s18, v6
	v_cmp_le_u32_e32 vcc_lo, s18, v6
	v_cndmask_b32_e32 v6, v6, v10, vcc_lo
	v_cndmask_b32_e32 v2, v2, v9, vcc_lo
	v_mov_b32_e32 v10, v5
	v_cmp_le_u32_e32 vcc_lo, s18, v6
	v_add_nc_u32_e32 v9, 1, v2
	v_cndmask_b32_e32 v9, v2, v9, vcc_lo
.LBB0_6:                                ;   in Loop: Header=BB0_2 Depth=1
	s_or_b32 exec_lo, exec_lo, s0
	s_load_dwordx2 s[0:1], s[6:7], 0x0
	v_mul_lo_u32 v2, v10, s18
	v_mul_lo_u32 v6, v9, s19
	v_mad_u64_u32 v[11:12], null, v9, s18, 0
	s_add_u32 s16, s16, 1
	s_addc_u32 s17, s17, 0
	s_add_u32 s6, s6, 8
	s_addc_u32 s7, s7, 0
	;; [unrolled: 2-line block ×3, first 2 shown]
	v_add3_u32 v2, v12, v6, v2
	v_sub_co_u32 v6, vcc_lo, v7, v11
	v_sub_co_ci_u32_e32 v2, vcc_lo, v8, v2, vcc_lo
	s_waitcnt lgkmcnt(0)
	v_mul_lo_u32 v7, s1, v6
	v_mul_lo_u32 v2, s0, v2
	v_mad_u64_u32 v[3:4], null, s0, v6, v[3:4]
	v_cmp_ge_u64_e64 s0, s[16:17], s[10:11]
	s_and_b32 vcc_lo, exec_lo, s0
	v_add3_u32 v4, v7, v4, v2
	s_cbranch_vccnz .LBB0_8
; %bb.7:                                ;   in Loop: Header=BB0_2 Depth=1
	v_mov_b32_e32 v7, v9
	v_mov_b32_e32 v8, v10
	s_branch .LBB0_2
.LBB0_8:
	s_lshl_b64 s[0:1], s[10:11], 3
	v_mul_hi_u32 v2, 0xaaaaaaab, v1
	s_add_u32 s0, s12, s0
	s_addc_u32 s1, s13, s1
	s_load_dwordx2 s[4:5], s[4:5], 0x20
	s_load_dwordx2 s[0:1], s[0:1], 0x0
	v_mul_hi_u32 v5, 0x3030304, v0
	v_lshrrev_b32_e32 v2, 1, v2
	v_lshl_add_u32 v6, v2, 1, v2
	v_sub_nc_u32_e32 v1, v1, v6
	s_waitcnt lgkmcnt(0)
	v_cmp_gt_u64_e32 vcc_lo, s[4:5], v[9:10]
	v_mul_lo_u32 v7, s0, v10
	v_mul_lo_u32 v8, s1, v9
	v_mad_u64_u32 v[2:3], null, s0, v9, v[3:4]
	v_mul_u32_u24_e32 v4, 0x55, v5
	v_mul_u32_u24_e32 v1, 0x551, v1
	v_sub_nc_u32_e32 v80, v0, v4
	v_add3_u32 v3, v8, v3, v7
	v_lshlrev_b32_e32 v210, 4, v1
	v_lshlrev_b64 v[82:83], 4, v[2:3]
	s_and_saveexec_b32 s1, vcc_lo
	s_cbranch_execz .LBB0_12
; %bb.9:
	v_mov_b32_e32 v81, 0
	v_add_co_u32 v0, s0, s2, v82
	v_add_co_ci_u32_e64 v2, s0, s3, v83, s0
	v_lshlrev_b64 v[3:4], 4, v[80:81]
	s_mov_b32 s4, exec_lo
	v_add_co_u32 v12, s0, v0, v3
	v_add_co_ci_u32_e64 v13, s0, v2, v4, s0
	v_lshlrev_b32_e32 v3, 4, v80
	v_add_co_u32 v16, s0, 0x800, v12
	v_add_co_ci_u32_e64 v17, s0, 0, v13, s0
	v_add_co_u32 v20, s0, 0x1000, v12
	v_add_co_ci_u32_e64 v21, s0, 0, v13, s0
	;; [unrolled: 2-line block ×9, first 2 shown]
	s_clause 0xf
	global_load_dwordx4 v[4:7], v[12:13], off
	global_load_dwordx4 v[8:11], v[12:13], off offset:1360
	global_load_dwordx4 v[12:15], v[16:17], off offset:672
	;; [unrolled: 1-line block ×15, first 2 shown]
	v_add3_u32 v3, 0, v210, v3
	s_waitcnt vmcnt(15)
	ds_write_b128 v3, v[4:7]
	s_waitcnt vmcnt(14)
	ds_write_b128 v3, v[8:11] offset:1360
	s_waitcnt vmcnt(13)
	ds_write_b128 v3, v[12:15] offset:2720
	;; [unrolled: 2-line block ×15, first 2 shown]
	v_cmpx_eq_u32_e32 0x54, v80
	s_cbranch_execz .LBB0_11
; %bb.10:
	v_add_co_u32 v4, s0, 0x5000, v0
	v_add_co_ci_u32_e64 v5, s0, 0, v2, s0
	v_mov_b32_e32 v80, 0x54
	global_load_dwordx4 v[4:7], v[4:5], off offset:1280
	s_waitcnt vmcnt(0)
	ds_write_b128 v3, v[4:7] offset:20416
.LBB0_11:
	s_or_b32 exec_lo, exec_lo, s4
.LBB0_12:
	s_or_b32 exec_lo, exec_lo, s1
	v_lshl_add_u32 v208, v1, 4, 0
	v_lshlrev_b32_e32 v10, 4, v80
	s_waitcnt lgkmcnt(0)
	s_barrier
	buffer_gl0_inv
	s_add_u32 s1, s8, 0x53f0
	v_add_nc_u32_e32 v209, v208, v10
	v_sub_nc_u32_e32 v11, v208, v10
	s_addc_u32 s4, s9, 0
	s_mov_b32 s5, exec_lo
	ds_read_b64 v[6:7], v209
	ds_read_b64 v[8:9], v11 offset:21760
                                        ; implicit-def: $vgpr4_vgpr5
	s_waitcnt lgkmcnt(0)
	v_add_f64 v[0:1], v[6:7], v[8:9]
	v_add_f64 v[2:3], v[6:7], -v[8:9]
	v_cmpx_ne_u32_e32 0, v80
	s_xor_b32 s5, exec_lo, s5
	s_cbranch_execz .LBB0_14
; %bb.13:
	v_mov_b32_e32 v81, 0
	v_add_f64 v[14:15], v[6:7], v[8:9]
	v_add_f64 v[16:17], v[6:7], -v[8:9]
	v_lshlrev_b64 v[0:1], 4, v[80:81]
	v_add_co_u32 v0, s0, s1, v0
	v_add_co_ci_u32_e64 v1, s0, s4, v1, s0
	global_load_dwordx4 v[2:5], v[0:1], off
	ds_read_b64 v[0:1], v11 offset:21768
	ds_read_b64 v[12:13], v209 offset:8
	s_waitcnt lgkmcnt(0)
	v_add_f64 v[6:7], v[0:1], v[12:13]
	v_add_f64 v[0:1], v[12:13], -v[0:1]
	s_waitcnt vmcnt(0)
	v_fma_f64 v[8:9], v[16:17], v[4:5], v[14:15]
	v_fma_f64 v[12:13], -v[16:17], v[4:5], v[14:15]
	v_fma_f64 v[14:15], v[6:7], v[4:5], -v[0:1]
	v_fma_f64 v[4:5], v[6:7], v[4:5], v[0:1]
	v_fma_f64 v[0:1], -v[6:7], v[2:3], v[8:9]
	v_fma_f64 v[6:7], v[6:7], v[2:3], v[12:13]
	v_fma_f64 v[8:9], v[16:17], v[2:3], v[14:15]
	;; [unrolled: 1-line block ×3, first 2 shown]
	v_mov_b32_e32 v4, v80
	v_mov_b32_e32 v5, v81
	ds_write_b128 v11, v[6:9] offset:21760
.LBB0_14:
	s_andn2_saveexec_b32 s0, s5
	s_cbranch_execz .LBB0_16
; %bb.15:
	ds_read_b128 v[4:7], v208 offset:10880
	s_waitcnt lgkmcnt(0)
	v_add_f64 v[12:13], v[4:5], v[4:5]
	v_mul_f64 v[14:15], v[6:7], -2.0
	v_mov_b32_e32 v4, 0
	v_mov_b32_e32 v5, 0
	ds_write_b128 v208, v[12:15] offset:10880
.LBB0_16:
	s_or_b32 exec_lo, exec_lo, s0
	v_lshlrev_b64 v[4:5], 4, v[4:5]
	v_add3_u32 v81, 0, v10, v210
	s_mov_b32 s12, 0x5d8e7cdc
	s_mov_b32 s6, 0x2a9d6da3
	;; [unrolled: 1-line block ×4, first 2 shown]
	v_add_co_u32 v28, s0, s1, v4
	v_add_co_ci_u32_e64 v29, s0, s4, v5, s0
	s_mov_b32 s4, 0x370991
	v_add_co_u32 v8, s0, 0x800, v28
	global_load_dwordx4 v[4:7], v[28:29], off offset:1360
	v_add_co_ci_u32_e64 v9, s0, 0, v29, s0
	s_mov_b32 s10, 0x75d4884
	s_mov_b32 s28, 0xeb564b22
	s_clause 0x1
	global_load_dwordx4 v[12:15], v[8:9], off offset:672
	global_load_dwordx4 v[16:19], v[8:9], off offset:2032
	v_add_co_u32 v8, s0, 0x1000, v28
	v_add_co_ci_u32_e64 v9, s0, 0, v29, s0
	ds_write_b128 v209, v[0:3]
	ds_read_b128 v[0:3], v209 offset:1360
	ds_read_b128 v[20:23], v11 offset:20400
	s_mov_b32 s5, 0x3fedd6d0
	global_load_dwordx4 v[24:27], v[8:9], off offset:1344
	s_mov_b32 s11, 0x3fe7a5f6
	s_mov_b32 s29, 0xbfefdd0d
	;; [unrolled: 1-line block ×17, first 2 shown]
	s_waitcnt lgkmcnt(0)
	v_add_f64 v[8:9], v[0:1], v[20:21]
	v_add_f64 v[30:31], v[22:23], v[2:3]
	v_add_f64 v[20:21], v[0:1], -v[20:21]
	v_add_f64 v[0:1], v[2:3], -v[22:23]
	s_mov_b32 s21, 0xbfeec746
	s_mov_b32 s31, 0x3fe0d888
	;; [unrolled: 1-line block ×15, first 2 shown]
	s_mov_b32 s33, exec_lo
	s_waitcnt vmcnt(3)
	v_fma_f64 v[2:3], v[20:21], v[6:7], v[8:9]
	v_fma_f64 v[22:23], v[30:31], v[6:7], v[0:1]
	v_fma_f64 v[8:9], -v[20:21], v[6:7], v[8:9]
	v_fma_f64 v[32:33], v[30:31], v[6:7], -v[0:1]
	v_fma_f64 v[0:1], -v[30:31], v[4:5], v[2:3]
	v_fma_f64 v[2:3], v[20:21], v[4:5], v[22:23]
	v_fma_f64 v[6:7], v[30:31], v[4:5], v[8:9]
	;; [unrolled: 1-line block ×3, first 2 shown]
	v_add_co_u32 v30, s0, 0x1800, v28
	v_add_co_ci_u32_e64 v31, s0, 0, v29, s0
	ds_write_b128 v209, v[0:3] offset:1360
	ds_write_b128 v11, v[6:9] offset:20400
	ds_read_b128 v[0:3], v209 offset:2720
	ds_read_b128 v[4:7], v11 offset:19040
	global_load_dwordx4 v[20:23], v[30:31], off offset:656
	s_waitcnt lgkmcnt(0)
	v_add_f64 v[8:9], v[0:1], v[4:5]
	v_add_f64 v[32:33], v[6:7], v[2:3]
	v_add_f64 v[34:35], v[0:1], -v[4:5]
	v_add_f64 v[0:1], v[2:3], -v[6:7]
	s_waitcnt vmcnt(3)
	v_fma_f64 v[2:3], v[34:35], v[14:15], v[8:9]
	v_fma_f64 v[4:5], v[32:33], v[14:15], v[0:1]
	v_fma_f64 v[6:7], -v[34:35], v[14:15], v[8:9]
	v_fma_f64 v[8:9], v[32:33], v[14:15], -v[0:1]
	v_fma_f64 v[0:1], -v[32:33], v[12:13], v[2:3]
	v_fma_f64 v[2:3], v[34:35], v[12:13], v[4:5]
	v_fma_f64 v[4:5], v[32:33], v[12:13], v[6:7]
	v_fma_f64 v[6:7], v[34:35], v[12:13], v[8:9]
	ds_write_b128 v209, v[0:3] offset:2720
	ds_write_b128 v11, v[4:7] offset:19040
	ds_read_b128 v[0:3], v209 offset:4080
	ds_read_b128 v[4:7], v11 offset:17680
	global_load_dwordx4 v[12:15], v[30:31], off offset:2016
	s_waitcnt lgkmcnt(0)
	v_add_f64 v[8:9], v[0:1], v[4:5]
	v_add_f64 v[30:31], v[6:7], v[2:3]
	v_add_f64 v[32:33], v[0:1], -v[4:5]
	v_add_f64 v[0:1], v[2:3], -v[6:7]
	s_waitcnt vmcnt(3)
	v_fma_f64 v[2:3], v[32:33], v[18:19], v[8:9]
	v_fma_f64 v[4:5], v[30:31], v[18:19], v[0:1]
	v_fma_f64 v[6:7], -v[32:33], v[18:19], v[8:9]
	v_fma_f64 v[8:9], v[30:31], v[18:19], -v[0:1]
	v_fma_f64 v[0:1], -v[30:31], v[16:17], v[2:3]
	v_fma_f64 v[2:3], v[32:33], v[16:17], v[4:5]
	v_fma_f64 v[4:5], v[30:31], v[16:17], v[6:7]
	;; [unrolled: 1-line block ×3, first 2 shown]
	v_add_co_u32 v8, s0, 0x2000, v28
	v_add_co_ci_u32_e64 v9, s0, 0, v29, s0
	ds_write_b128 v209, v[0:3] offset:4080
	ds_write_b128 v11, v[4:7] offset:17680
	ds_read_b128 v[0:3], v209 offset:5440
	ds_read_b128 v[4:7], v11 offset:16320
	global_load_dwordx4 v[16:19], v[8:9], off offset:1328
	s_waitcnt lgkmcnt(0)
	v_add_f64 v[8:9], v[0:1], v[4:5]
	v_add_f64 v[28:29], v[6:7], v[2:3]
	v_add_f64 v[30:31], v[0:1], -v[4:5]
	v_add_f64 v[0:1], v[2:3], -v[6:7]
	s_waitcnt vmcnt(3)
	v_fma_f64 v[2:3], v[30:31], v[26:27], v[8:9]
	v_fma_f64 v[4:5], v[28:29], v[26:27], v[0:1]
	v_fma_f64 v[6:7], -v[30:31], v[26:27], v[8:9]
	v_fma_f64 v[8:9], v[28:29], v[26:27], -v[0:1]
	v_fma_f64 v[0:1], -v[28:29], v[24:25], v[2:3]
	v_fma_f64 v[2:3], v[30:31], v[24:25], v[4:5]
	v_fma_f64 v[4:5], v[28:29], v[24:25], v[6:7]
	v_fma_f64 v[6:7], v[30:31], v[24:25], v[8:9]
	ds_write_b128 v209, v[0:3] offset:5440
	ds_write_b128 v11, v[4:7] offset:16320
	ds_read_b128 v[0:3], v209 offset:6800
	ds_read_b128 v[4:7], v11 offset:14960
	s_waitcnt lgkmcnt(0)
	v_add_f64 v[8:9], v[0:1], v[4:5]
	v_add_f64 v[24:25], v[6:7], v[2:3]
	v_add_f64 v[26:27], v[0:1], -v[4:5]
	v_add_f64 v[0:1], v[2:3], -v[6:7]
	s_waitcnt vmcnt(2)
	v_fma_f64 v[2:3], v[26:27], v[22:23], v[8:9]
	v_fma_f64 v[4:5], v[24:25], v[22:23], v[0:1]
	v_fma_f64 v[6:7], -v[26:27], v[22:23], v[8:9]
	v_fma_f64 v[8:9], v[24:25], v[22:23], -v[0:1]
	v_fma_f64 v[0:1], -v[24:25], v[20:21], v[2:3]
	v_fma_f64 v[2:3], v[26:27], v[20:21], v[4:5]
	v_fma_f64 v[4:5], v[24:25], v[20:21], v[6:7]
	v_fma_f64 v[6:7], v[26:27], v[20:21], v[8:9]
	ds_write_b128 v209, v[0:3] offset:6800
	ds_write_b128 v11, v[4:7] offset:14960
	ds_read_b128 v[0:3], v209 offset:8160
	ds_read_b128 v[4:7], v11 offset:13600
	;; [unrolled: 18-line block ×3, first 2 shown]
	s_waitcnt lgkmcnt(0)
	v_add_f64 v[8:9], v[0:1], v[4:5]
	v_add_f64 v[12:13], v[6:7], v[2:3]
	v_add_f64 v[14:15], v[0:1], -v[4:5]
	v_add_f64 v[0:1], v[2:3], -v[6:7]
	s_waitcnt vmcnt(0)
	v_fma_f64 v[2:3], v[14:15], v[18:19], v[8:9]
	v_fma_f64 v[4:5], v[12:13], v[18:19], v[0:1]
	v_fma_f64 v[6:7], -v[14:15], v[18:19], v[8:9]
	v_fma_f64 v[8:9], v[12:13], v[18:19], -v[0:1]
	v_fma_f64 v[0:1], -v[12:13], v[16:17], v[2:3]
	v_fma_f64 v[2:3], v[14:15], v[16:17], v[4:5]
	v_fma_f64 v[4:5], v[12:13], v[16:17], v[6:7]
	;; [unrolled: 1-line block ×3, first 2 shown]
	ds_write_b128 v209, v[0:3] offset:9520
	ds_write_b128 v11, v[4:7] offset:12240
	s_waitcnt lgkmcnt(0)
	s_barrier
	buffer_gl0_inv
	s_barrier
	buffer_gl0_inv
	ds_read_b128 v[12:15], v81 offset:20480
	ds_read_b128 v[36:39], v81 offset:1280
	;; [unrolled: 1-line block ×4, first 2 shown]
	ds_read_b128 v[8:11], v209
	ds_read_b128 v[44:47], v81 offset:3840
	ds_read_b128 v[20:23], v81 offset:17920
	;; [unrolled: 1-line block ×8, first 2 shown]
	s_waitcnt lgkmcnt(11)
	v_add_f64 v[136:137], v[38:39], -v[14:15]
	v_add_f64 v[138:139], v[36:37], -v[12:13]
	s_waitcnt lgkmcnt(9)
	v_add_f64 v[78:79], v[42:43], -v[18:19]
	v_add_f64 v[76:77], v[40:41], -v[16:17]
	v_add_f64 v[144:145], v[36:37], v[12:13]
	v_add_f64 v[152:153], v[38:39], v[14:15]
	s_waitcnt lgkmcnt(6)
	v_add_f64 v[108:109], v[46:47], -v[22:23]
	v_add_f64 v[84:85], v[44:45], -v[20:21]
	v_add_f64 v[86:87], v[40:41], v[16:17]
	v_add_f64 v[114:115], v[42:43], v[18:19]
	;; [unrolled: 1-line block ×4, first 2 shown]
	s_waitcnt lgkmcnt(4)
	v_add_f64 v[112:113], v[74:75], -v[26:27]
	v_add_f64 v[90:91], v[72:73], -v[24:25]
	v_add_f64 v[92:93], v[72:73], v[24:25]
	v_add_f64 v[120:121], v[74:75], v[26:27]
	s_waitcnt lgkmcnt(2)
	v_add_f64 v[118:119], v[66:67], -v[30:31]
	v_add_f64 v[94:95], v[64:65], -v[28:29]
	v_add_f64 v[96:97], v[64:65], v[28:29]
	v_add_f64 v[124:125], v[66:67], v[30:31]
	s_waitcnt lgkmcnt(0)
	v_add_f64 v[122:123], v[70:71], -v[34:35]
	v_add_f64 v[98:99], v[68:69], -v[32:33]
	v_mul_f64 v[146:147], v[136:137], s[12:13]
	v_mul_f64 v[154:155], v[138:139], s[12:13]
	;; [unrolled: 1-line block ×20, first 2 shown]
	v_add_f64 v[128:129], v[70:71], v[34:35]
	v_mul_f64 v[192:193], v[122:123], s[22:23]
	v_fma_f64 v[0:1], v[144:145], s[4:5], v[146:147]
	v_fma_f64 v[2:3], v[152:153], s[4:5], -v[154:155]
	v_fma_f64 v[4:5], v[144:145], s[10:11], v[204:205]
	v_fma_f64 v[6:7], v[152:153], s[10:11], -v[206:207]
	;; [unrolled: 2-line block ×8, first 2 shown]
	v_mul_f64 v[194:195], v[98:99], s[22:23]
	v_mul_f64 v[174:175], v[122:123], s[46:47]
	;; [unrolled: 1-line block ×3, first 2 shown]
	v_fma_f64 v[134:135], v[96:97], s[18:19], v[182:183]
	v_fma_f64 v[188:189], v[124:125], s[18:19], -v[184:185]
	v_fma_f64 v[190:191], v[96:97], s[38:39], v[166:167]
	v_add_f64 v[0:1], v[8:9], v[0:1]
	v_add_f64 v[2:3], v[10:11], v[2:3]
	;; [unrolled: 1-line block ×4, first 2 shown]
	v_fma_f64 v[200:201], v[124:125], s[38:39], -v[170:171]
	v_fma_f64 v[213:214], v[128:129], s[24:25], -v[194:195]
	;; [unrolled: 1-line block ×3, first 2 shown]
	v_add_f64 v[0:1], v[48:49], v[0:1]
	v_add_f64 v[2:3], v[50:51], v[2:3]
	;; [unrolled: 1-line block ×4, first 2 shown]
	ds_read_b128 v[56:59], v81 offset:8960
	ds_read_b128 v[48:51], v81 offset:12800
	v_add_f64 v[0:1], v[60:61], v[0:1]
	v_add_f64 v[2:3], v[62:63], v[2:3]
	;; [unrolled: 1-line block ×5, first 2 shown]
	s_waitcnt lgkmcnt(0)
	v_add_f64 v[126:127], v[58:59], -v[50:51]
	v_add_f64 v[102:103], v[56:57], -v[48:49]
	ds_read_b128 v[60:63], v81 offset:10240
	ds_read_b128 v[52:55], v81 offset:11520
	v_add_f64 v[132:133], v[58:59], v[50:51]
	s_waitcnt lgkmcnt(0)
	s_barrier
	buffer_gl0_inv
	v_add_f64 v[0:1], v[104:105], v[0:1]
	v_add_f64 v[2:3], v[106:107], v[2:3]
	;; [unrolled: 1-line block ×5, first 2 shown]
	v_add_f64 v[130:131], v[62:63], -v[54:55]
	v_add_f64 v[106:107], v[60:61], -v[52:53]
	v_mul_f64 v[196:197], v[126:127], s[44:45]
	v_mul_f64 v[198:199], v[102:103], s[44:45]
	;; [unrolled: 1-line block ×4, first 2 shown]
	v_fma_f64 v[211:212], v[100:101], s[24:25], v[192:193]
	v_fma_f64 v[215:216], v[100:101], s[18:19], v[174:175]
	v_add_f64 v[110:111], v[60:61], v[52:53]
	v_add_f64 v[0:1], v[134:135], v[0:1]
	;; [unrolled: 1-line block ×6, first 2 shown]
	v_mul_f64 v[200:201], v[130:131], s[26:27]
	v_mul_f64 v[202:203], v[106:107], s[26:27]
	;; [unrolled: 1-line block ×4, first 2 shown]
	v_fma_f64 v[219:220], v[104:105], s[38:39], v[196:197]
	v_fma_f64 v[221:222], v[132:133], s[38:39], -v[198:199]
	v_fma_f64 v[223:224], v[104:105], s[14:15], v[180:181]
	v_fma_f64 v[225:226], v[132:133], s[14:15], -v[186:187]
	v_add_f64 v[0:1], v[211:212], v[0:1]
	v_add_f64 v[2:3], v[213:214], v[2:3]
	;; [unrolled: 1-line block ×4, first 2 shown]
	v_fma_f64 v[211:212], v[110:111], s[36:37], v[200:201]
	v_fma_f64 v[213:214], v[134:135], s[36:37], -v[202:203]
	v_fma_f64 v[215:216], v[110:111], s[4:5], v[188:189]
	v_fma_f64 v[217:218], v[134:135], s[4:5], -v[190:191]
	v_add_f64 v[0:1], v[219:220], v[0:1]
	v_add_f64 v[2:3], v[221:222], v[2:3]
	v_add_f64 v[219:220], v[223:224], v[4:5]
	v_add_f64 v[221:222], v[225:226], v[6:7]
	v_add_f64 v[4:5], v[211:212], v[0:1]
	v_add_f64 v[6:7], v[213:214], v[2:3]
	v_add_f64 v[0:1], v[215:216], v[219:220]
	v_add_f64 v[2:3], v[217:218], v[221:222]
	v_cmpx_gt_u32_e32 0x50, v80
	s_cbranch_execz .LBB0_18
; %bb.17:
	v_add_f64 v[36:37], v[8:9], v[36:37]
	v_add_f64 v[38:39], v[10:11], v[38:39]
	s_mov_b32 s51, 0x3fc7851a
	s_mov_b32 s50, s26
	;; [unrolled: 1-line block ×8, first 2 shown]
	v_mul_f64 v[213:214], v[134:135], s[16:17]
	v_mul_f64 v[215:216], v[130:131], s[0:1]
	v_mul_f64 v[217:218], v[134:135], s[24:25]
	v_mul_f64 v[219:220], v[130:131], s[22:23]
	v_add_f64 v[36:37], v[36:37], v[40:41]
	v_add_f64 v[38:39], v[38:39], v[42:43]
	v_mul_f64 v[42:43], v[144:145], s[10:11]
	v_mul_f64 v[40:41], v[152:153], s[10:11]
	v_add_f64 v[36:37], v[36:37], v[44:45]
	v_add_f64 v[38:39], v[38:39], v[46:47]
	v_mul_f64 v[46:47], v[136:137], s[26:27]
	v_add_f64 v[42:43], v[42:43], -v[204:205]
	v_mul_f64 v[44:45], v[152:153], s[4:5]
	v_add_f64 v[40:41], v[206:207], v[40:41]
	v_add_f64 v[36:37], v[36:37], v[72:73]
	;; [unrolled: 1-line block ×8, first 2 shown]
	v_mul_f64 v[70:71], v[144:145], s[4:5]
	v_add_f64 v[36:37], v[36:37], v[56:57]
	v_add_f64 v[38:39], v[38:39], v[58:59]
	v_mul_f64 v[56:57], v[136:137], s[34:35]
	v_fma_f64 v[58:59], v[144:145], s[36:37], v[46:47]
	v_fma_f64 v[46:47], v[144:145], s[36:37], -v[46:47]
	v_add_f64 v[70:71], v[70:71], -v[146:147]
	v_add_f64 v[36:37], v[36:37], v[60:61]
	v_add_f64 v[38:39], v[38:39], v[62:63]
	v_fma_f64 v[68:69], v[144:145], s[14:15], v[56:57]
	v_fma_f64 v[56:57], v[144:145], s[14:15], -v[56:57]
	v_add_f64 v[58:59], v[8:9], v[58:59]
	v_add_f64 v[46:47], v[8:9], v[46:47]
	v_add_f64 v[36:37], v[36:37], v[52:53]
	v_add_f64 v[38:39], v[38:39], v[54:55]
	v_mul_f64 v[52:53], v[136:137], s[20:21]
	v_mul_f64 v[54:55], v[136:137], s[28:29]
	v_add_f64 v[68:69], v[8:9], v[68:69]
	v_add_f64 v[36:37], v[36:37], v[48:49]
	;; [unrolled: 1-line block ×3, first 2 shown]
	v_mul_f64 v[48:49], v[136:137], s[44:45]
	v_mul_f64 v[50:51], v[136:137], s[22:23]
	v_fma_f64 v[64:65], v[144:145], s[18:19], v[52:53]
	v_fma_f64 v[52:53], v[144:145], s[18:19], -v[52:53]
	v_fma_f64 v[66:67], v[144:145], s[16:17], v[54:55]
	v_fma_f64 v[54:55], v[144:145], s[16:17], -v[54:55]
	v_add_f64 v[32:33], v[36:37], v[32:33]
	v_add_f64 v[34:35], v[38:39], v[34:35]
	v_mul_f64 v[36:37], v[152:153], s[14:15]
	v_fma_f64 v[60:61], v[144:145], s[38:39], v[48:49]
	v_fma_f64 v[48:49], v[144:145], s[38:39], -v[48:49]
	v_fma_f64 v[62:63], v[144:145], s[24:25], v[50:51]
	v_fma_f64 v[50:51], v[144:145], s[24:25], -v[50:51]
	v_add_f64 v[64:65], v[8:9], v[64:65]
	v_add_f64 v[52:53], v[8:9], v[52:53]
	;; [unrolled: 1-line block ×6, first 2 shown]
	v_mul_f64 v[32:33], v[152:153], s[16:17]
	v_fma_f64 v[38:39], v[138:139], s[42:43], v[36:37]
	v_fma_f64 v[36:37], v[138:139], s[34:35], v[36:37]
	v_add_f64 v[60:61], v[8:9], v[60:61]
	v_add_f64 v[48:49], v[8:9], v[48:49]
	;; [unrolled: 1-line block ×6, first 2 shown]
	v_mul_f64 v[28:29], v[152:153], s[18:19]
	v_fma_f64 v[34:35], v[138:139], s[0:1], v[32:33]
	v_fma_f64 v[32:33], v[138:139], s[28:29], v[32:33]
	v_add_f64 v[154:155], v[10:11], v[38:39]
	v_add_f64 v[38:39], v[8:9], v[56:57]
	;; [unrolled: 1-line block ×5, first 2 shown]
	v_mul_f64 v[24:25], v[152:153], s[24:25]
	v_fma_f64 v[30:31], v[138:139], s[46:47], v[28:29]
	v_fma_f64 v[28:29], v[138:139], s[20:21], v[28:29]
	v_add_f64 v[146:147], v[10:11], v[34:35]
	v_add_f64 v[34:35], v[8:9], v[42:43]
	;; [unrolled: 1-line block ×3, first 2 shown]
	v_mul_f64 v[20:21], v[152:153], s[38:39]
	v_add_f64 v[18:19], v[22:23], v[18:19]
	v_fma_f64 v[26:27], v[138:139], s[48:49], v[24:25]
	v_fma_f64 v[24:25], v[138:139], s[22:23], v[24:25]
	v_add_f64 v[144:145], v[10:11], v[28:29]
	v_add_f64 v[28:29], v[10:11], v[44:45]
	;; [unrolled: 1-line block ×3, first 2 shown]
	v_mul_f64 v[16:17], v[152:153], s[36:37]
	v_fma_f64 v[22:23], v[138:139], s[30:31], v[20:21]
	v_fma_f64 v[20:21], v[138:139], s[44:45], v[20:21]
	v_add_f64 v[14:15], v[18:19], v[14:15]
	v_add_f64 v[136:137], v[10:11], v[24:25]
	v_mul_f64 v[24:25], v[116:117], s[38:39]
	v_add_f64 v[74:75], v[10:11], v[26:27]
	v_add_f64 v[152:153], v[10:11], v[32:33]
	;; [unrolled: 1-line block ×3, first 2 shown]
	v_fma_f64 v[18:19], v[138:139], s[50:51], v[16:17]
	v_fma_f64 v[16:17], v[138:139], s[26:27], v[16:17]
	v_add_f64 v[72:73], v[10:11], v[20:21]
	v_mul_f64 v[20:21], v[114:115], s[4:5]
	v_add_f64 v[138:139], v[10:11], v[30:31]
	v_add_f64 v[30:31], v[8:9], v[70:71]
	v_fma_f64 v[26:27], v[84:85], s[30:31], v[24:25]
	v_add_f64 v[22:23], v[10:11], v[22:23]
	v_add_f64 v[18:19], v[10:11], v[18:19]
	;; [unrolled: 1-line block ×3, first 2 shown]
	v_fma_f64 v[8:9], v[76:77], s[12:13], v[20:21]
	v_fma_f64 v[20:21], v[76:77], s[40:41], v[20:21]
	v_add_f64 v[8:9], v[8:9], v[18:19]
	v_mul_f64 v[18:19], v[78:79], s[40:41]
	v_add_f64 v[16:17], v[20:21], v[16:17]
	v_fma_f64 v[20:21], v[84:85], s[44:45], v[24:25]
	v_fma_f64 v[24:25], v[110:111], s[16:17], -v[215:216]
	v_add_f64 v[8:9], v[26:27], v[8:9]
	v_fma_f64 v[10:11], v[86:87], s[4:5], v[18:19]
	v_mul_f64 v[26:27], v[108:109], s[44:45]
	v_fma_f64 v[18:19], v[86:87], s[4:5], -v[18:19]
	v_add_f64 v[16:17], v[20:21], v[16:17]
	v_add_f64 v[10:11], v[10:11], v[58:59]
	v_fma_f64 v[40:41], v[88:89], s[38:39], v[26:27]
	v_add_f64 v[18:19], v[18:19], v[46:47]
	v_fma_f64 v[20:21], v[88:89], s[38:39], -v[26:27]
	v_mul_f64 v[26:27], v[78:79], s[42:43]
	v_add_f64 v[10:11], v[40:41], v[10:11]
	v_mul_f64 v[40:41], v[120:121], s[10:11]
	v_add_f64 v[18:19], v[20:21], v[18:19]
	v_fma_f64 v[42:43], v[90:91], s[6:7], v[40:41]
	v_fma_f64 v[20:21], v[90:91], s[52:53], v[40:41]
	v_mul_f64 v[40:41], v[116:117], s[16:17]
	v_add_f64 v[8:9], v[42:43], v[8:9]
	v_mul_f64 v[42:43], v[112:113], s[52:53]
	v_add_f64 v[16:17], v[20:21], v[16:17]
	v_fma_f64 v[44:45], v[92:93], s[10:11], v[42:43]
	v_fma_f64 v[20:21], v[92:93], s[10:11], -v[42:43]
	v_fma_f64 v[42:43], v[84:85], s[0:1], v[40:41]
	v_fma_f64 v[40:41], v[84:85], s[28:29], v[40:41]
	v_add_f64 v[10:11], v[44:45], v[10:11]
	v_mul_f64 v[44:45], v[124:125], s[24:25]
	v_add_f64 v[18:19], v[20:21], v[18:19]
	v_fma_f64 v[56:57], v[94:95], s[48:49], v[44:45]
	v_fma_f64 v[20:21], v[94:95], s[22:23], v[44:45]
	v_add_f64 v[8:9], v[56:57], v[8:9]
	v_mul_f64 v[56:57], v[118:119], s[22:23]
	v_add_f64 v[16:17], v[20:21], v[16:17]
	v_fma_f64 v[58:59], v[96:97], s[24:25], v[56:57]
	v_fma_f64 v[20:21], v[96:97], s[24:25], -v[56:57]
	v_add_f64 v[10:11], v[58:59], v[10:11]
	v_mul_f64 v[58:59], v[128:129], s[14:15]
	v_add_f64 v[18:19], v[20:21], v[18:19]
	v_fma_f64 v[70:71], v[98:99], s[34:35], v[58:59]
	v_fma_f64 v[20:21], v[98:99], s[42:43], v[58:59]
	v_add_f64 v[8:9], v[70:71], v[8:9]
	v_mul_f64 v[70:71], v[122:123], s[42:43]
	v_add_f64 v[16:17], v[20:21], v[16:17]
	v_fma_f64 v[204:205], v[100:101], s[14:15], v[70:71]
	v_fma_f64 v[20:21], v[100:101], s[14:15], -v[70:71]
	v_add_f64 v[10:11], v[204:205], v[10:11]
	v_mul_f64 v[204:205], v[132:133], s[18:19]
	v_add_f64 v[18:19], v[20:21], v[18:19]
	v_fma_f64 v[206:207], v[102:103], s[46:47], v[204:205]
	v_fma_f64 v[20:21], v[102:103], s[20:21], v[204:205]
	v_add_f64 v[8:9], v[206:207], v[8:9]
	v_mul_f64 v[206:207], v[126:127], s[20:21]
	v_add_f64 v[16:17], v[20:21], v[16:17]
	v_fma_f64 v[20:21], v[104:105], s[18:19], -v[206:207]
	v_fma_f64 v[211:212], v[104:105], s[18:19], v[206:207]
	v_add_f64 v[20:21], v[20:21], v[18:19]
	v_fma_f64 v[18:19], v[106:107], s[0:1], v[213:214]
	v_add_f64 v[211:212], v[211:212], v[10:11]
	v_fma_f64 v[10:11], v[106:107], s[28:29], v[213:214]
	v_mul_f64 v[213:214], v[134:135], s[18:19]
	v_add_f64 v[18:19], v[18:19], v[16:17]
	v_add_f64 v[16:17], v[24:25], v[20:21]
	v_mul_f64 v[24:25], v[114:115], s[14:15]
	v_add_f64 v[10:11], v[10:11], v[8:9]
	v_fma_f64 v[8:9], v[110:111], s[16:17], v[215:216]
	v_mul_f64 v[215:216], v[130:131], s[20:21]
	v_fma_f64 v[20:21], v[76:77], s[34:35], v[24:25]
	v_fma_f64 v[24:25], v[76:77], s[42:43], v[24:25]
	v_add_f64 v[8:9], v[8:9], v[211:212]
	v_add_f64 v[20:21], v[20:21], v[22:23]
	v_fma_f64 v[22:23], v[86:87], s[14:15], v[26:27]
	v_add_f64 v[24:25], v[24:25], v[72:73]
	v_fma_f64 v[26:27], v[86:87], s[14:15], -v[26:27]
	v_mul_f64 v[72:73], v[78:79], s[22:23]
	v_add_f64 v[20:21], v[42:43], v[20:21]
	v_mul_f64 v[42:43], v[108:109], s[28:29]
	v_add_f64 v[22:23], v[22:23], v[60:61]
	v_add_f64 v[26:27], v[26:27], v[48:49]
	;; [unrolled: 1-line block ×3, first 2 shown]
	v_mul_f64 v[48:49], v[120:121], s[16:17]
	v_fma_f64 v[44:45], v[88:89], s[16:17], v[42:43]
	v_fma_f64 v[40:41], v[88:89], s[16:17], -v[42:43]
	v_fma_f64 v[42:43], v[110:111], s[18:19], -v[215:216]
	v_add_f64 v[48:49], v[176:177], v[48:49]
	v_mul_f64 v[176:177], v[128:129], s[38:39]
	v_add_f64 v[22:23], v[44:45], v[22:23]
	v_mul_f64 v[44:45], v[120:121], s[24:25]
	v_add_f64 v[26:27], v[40:41], v[26:27]
	v_fma_f64 v[46:47], v[90:91], s[22:23], v[44:45]
	v_fma_f64 v[40:41], v[90:91], s[48:49], v[44:45]
	v_mul_f64 v[44:45], v[116:117], s[14:15]
	v_add_f64 v[20:21], v[46:47], v[20:21]
	v_mul_f64 v[46:47], v[112:113], s[48:49]
	v_add_f64 v[24:25], v[40:41], v[24:25]
	v_add_f64 v[44:45], v[168:169], v[44:45]
	v_mul_f64 v[168:169], v[134:135], s[38:39]
	v_fma_f64 v[56:57], v[92:93], s[24:25], v[46:47]
	v_fma_f64 v[40:41], v[92:93], s[24:25], -v[46:47]
	v_mul_f64 v[46:47], v[88:89], s[14:15]
	v_add_f64 v[22:23], v[56:57], v[22:23]
	v_mul_f64 v[56:57], v[124:125], s[4:5]
	v_add_f64 v[26:27], v[40:41], v[26:27]
	v_add_f64 v[46:47], v[46:47], -v[164:165]
	v_mul_f64 v[164:165], v[132:133], s[16:17]
	v_fma_f64 v[58:59], v[94:95], s[40:41], v[56:57]
	v_fma_f64 v[40:41], v[94:95], s[12:13], v[56:57]
	v_mul_f64 v[56:57], v[92:93], s[16:17]
	v_add_f64 v[20:21], v[58:59], v[20:21]
	v_mul_f64 v[58:59], v[118:119], s[12:13]
	v_add_f64 v[24:25], v[40:41], v[24:25]
	v_add_f64 v[56:57], v[56:57], -v[172:173]
	v_mul_f64 v[172:173], v[120:121], s[4:5]
	v_fma_f64 v[60:61], v[96:97], s[4:5], v[58:59]
	v_fma_f64 v[40:41], v[96:97], s[4:5], -v[58:59]
	v_mul_f64 v[58:59], v[124:125], s[18:19]
	v_add_f64 v[22:23], v[60:61], v[22:23]
	v_mul_f64 v[60:61], v[128:129], s[36:37]
	v_add_f64 v[26:27], v[40:41], v[26:27]
	v_add_f64 v[58:59], v[184:185], v[58:59]
	v_mul_f64 v[184:185], v[118:119], s[34:35]
	v_fma_f64 v[70:71], v[98:99], s[50:51], v[60:61]
	v_fma_f64 v[40:41], v[98:99], s[26:27], v[60:61]
	v_mul_f64 v[60:61], v[96:97], s[18:19]
	v_add_f64 v[20:21], v[70:71], v[20:21]
	v_mul_f64 v[70:71], v[122:123], s[26:27]
	v_add_f64 v[24:25], v[40:41], v[24:25]
	v_add_f64 v[60:61], v[60:61], -v[182:183]
	v_mul_f64 v[182:183], v[112:113], s[40:41]
	v_fma_f64 v[204:205], v[100:101], s[36:37], v[70:71]
	v_fma_f64 v[40:41], v[100:101], s[36:37], -v[70:71]
	v_mul_f64 v[70:71], v[128:129], s[24:25]
	v_add_f64 v[22:23], v[204:205], v[22:23]
	v_mul_f64 v[204:205], v[132:133], s[10:11]
	v_add_f64 v[26:27], v[40:41], v[26:27]
	v_add_f64 v[70:71], v[194:195], v[70:71]
	v_mul_f64 v[194:195], v[130:131], s[52:53]
	v_fma_f64 v[206:207], v[102:103], s[6:7], v[204:205]
	v_fma_f64 v[40:41], v[102:103], s[52:53], v[204:205]
	v_mul_f64 v[204:205], v[128:129], s[16:17]
	v_add_f64 v[20:21], v[206:207], v[20:21]
	v_mul_f64 v[206:207], v[126:127], s[52:53]
	v_add_f64 v[24:25], v[40:41], v[24:25]
	v_fma_f64 v[40:41], v[104:105], s[10:11], -v[206:207]
	v_fma_f64 v[211:212], v[104:105], s[10:11], v[206:207]
	v_mul_f64 v[206:207], v[118:119], s[26:27]
	v_add_f64 v[40:41], v[40:41], v[26:27]
	v_fma_f64 v[26:27], v[106:107], s[20:21], v[213:214]
	v_add_f64 v[211:212], v[211:212], v[22:23]
	v_fma_f64 v[22:23], v[106:107], s[46:47], v[213:214]
	v_mul_f64 v[213:214], v[122:123], s[0:1]
	v_add_f64 v[26:27], v[26:27], v[24:25]
	v_add_f64 v[24:25], v[42:43], v[40:41]
	v_mul_f64 v[40:41], v[114:115], s[10:11]
	v_mul_f64 v[42:43], v[86:87], s[10:11]
	v_add_f64 v[22:23], v[22:23], v[20:21]
	v_fma_f64 v[20:21], v[110:111], s[18:19], v[215:216]
	v_mul_f64 v[215:216], v[126:127], s[12:13]
	v_add_f64 v[40:41], v[162:163], v[40:41]
	v_add_f64 v[42:43], v[42:43], -v[158:159]
	v_mul_f64 v[158:159], v[118:119], s[52:53]
	v_mul_f64 v[162:163], v[122:123], s[12:13]
	v_add_f64 v[20:21], v[20:21], v[211:212]
	v_mul_f64 v[211:212], v[132:133], s[4:5]
	v_mul_f64 v[118:119], v[118:119], s[0:1]
	v_add_f64 v[28:29], v[40:41], v[28:29]
	v_add_f64 v[30:31], v[42:43], v[30:31]
	v_mul_f64 v[40:41], v[100:101], s[24:25]
	v_mul_f64 v[42:43], v[132:133], s[38:39]
	v_add_f64 v[28:29], v[44:45], v[28:29]
	v_add_f64 v[30:31], v[46:47], v[30:31]
	v_add_f64 v[40:41], v[40:41], -v[192:193]
	v_mul_f64 v[44:45], v[104:105], s[38:39]
	v_add_f64 v[42:43], v[198:199], v[42:43]
	v_mul_f64 v[46:47], v[134:135], s[36:37]
	v_mul_f64 v[192:193], v[134:135], s[10:11]
	;; [unrolled: 1-line block ×3, first 2 shown]
	v_add_f64 v[28:29], v[48:49], v[28:29]
	v_add_f64 v[30:31], v[56:57], v[30:31]
	v_mul_f64 v[48:49], v[120:121], s[36:37]
	v_add_f64 v[44:45], v[44:45], -v[196:197]
	v_mul_f64 v[56:57], v[92:93], s[36:37]
	v_add_f64 v[46:47], v[202:203], v[46:47]
	v_mul_f64 v[196:197], v[120:121], s[14:15]
	v_mul_f64 v[202:203], v[112:113], s[34:35]
	v_add_f64 v[28:29], v[58:59], v[28:29]
	v_add_f64 v[30:31], v[60:61], v[30:31]
	;; [unrolled: 1-line block ×3, first 2 shown]
	v_mul_f64 v[58:59], v[124:125], s[38:39]
	v_add_f64 v[56:57], v[56:57], -v[156:157]
	v_mul_f64 v[60:61], v[96:97], s[38:39]
	v_mul_f64 v[156:157], v[124:125], s[10:11]
	;; [unrolled: 1-line block ×3, first 2 shown]
	v_add_f64 v[28:29], v[70:71], v[28:29]
	v_add_f64 v[30:31], v[40:41], v[30:31]
	v_mul_f64 v[40:41], v[110:111], s[36:37]
	v_add_f64 v[58:59], v[170:171], v[58:59]
	v_mul_f64 v[70:71], v[114:115], s[24:25]
	v_add_f64 v[60:61], v[60:61], -v[166:167]
	v_mul_f64 v[166:167], v[126:127], s[28:29]
	v_mul_f64 v[170:171], v[130:131], s[44:45]
	;; [unrolled: 1-line block ×3, first 2 shown]
	v_add_f64 v[28:29], v[42:43], v[28:29]
	v_add_f64 v[42:43], v[44:45], v[30:31]
	v_add_f64 v[40:41], v[40:41], -v[200:201]
	v_mul_f64 v[44:45], v[116:117], s[24:25]
	v_mul_f64 v[200:201], v[124:125], s[36:37]
	v_add_f64 v[30:31], v[46:47], v[28:29]
	v_mul_f64 v[46:47], v[88:89], s[24:25]
	v_add_f64 v[28:29], v[40:41], v[42:43]
	v_mul_f64 v[40:41], v[114:115], s[16:17]
	v_mul_f64 v[42:43], v[86:87], s[16:17]
	v_add_f64 v[44:45], v[150:151], v[44:45]
	v_mul_f64 v[150:151], v[112:113], s[46:47]
	v_mul_f64 v[112:113], v[112:113], s[44:45]
	v_add_f64 v[46:47], v[46:47], -v[148:149]
	v_mul_f64 v[148:149], v[120:121], s[18:19]
	v_add_f64 v[40:41], v[142:143], v[40:41]
	v_add_f64 v[42:43], v[42:43], -v[140:141]
	v_mul_f64 v[140:141], v[116:117], s[36:37]
	v_mul_f64 v[142:143], v[108:109], s[50:51]
	v_add_f64 v[32:33], v[40:41], v[32:33]
	v_add_f64 v[34:35], v[42:43], v[34:35]
	v_mul_f64 v[40:41], v[128:129], s[18:19]
	v_mul_f64 v[42:43], v[100:101], s[18:19]
	v_add_f64 v[32:33], v[44:45], v[32:33]
	v_add_f64 v[34:35], v[46:47], v[34:35]
	;; [unrolled: 1-line block ×3, first 2 shown]
	v_mul_f64 v[44:45], v[132:133], s[14:15]
	v_add_f64 v[42:43], v[42:43], -v[174:175]
	v_mul_f64 v[46:47], v[104:105], s[14:15]
	v_mul_f64 v[174:175], v[124:125], s[14:15]
	;; [unrolled: 1-line block ×3, first 2 shown]
	v_add_f64 v[32:33], v[48:49], v[32:33]
	v_add_f64 v[34:35], v[56:57], v[34:35]
	v_mul_f64 v[56:57], v[114:115], s[38:39]
	v_add_f64 v[44:45], v[186:187], v[44:45]
	v_mul_f64 v[186:187], v[122:123], s[44:45]
	v_add_f64 v[46:47], v[46:47], -v[180:181]
	v_mul_f64 v[180:181], v[108:109], s[46:47]
	v_fma_f64 v[48:49], v[90:91], s[34:35], v[196:197]
	v_mul_f64 v[108:109], v[108:109], s[12:13]
	v_mul_f64 v[122:123], v[122:123], s[6:7]
	v_add_f64 v[32:33], v[58:59], v[32:33]
	v_add_f64 v[34:35], v[60:61], v[34:35]
	v_mul_f64 v[60:61], v[114:115], s[36:37]
	v_mul_f64 v[58:59], v[116:117], s[10:11]
	v_add_f64 v[32:33], v[40:41], v[32:33]
	v_mul_f64 v[40:41], v[134:135], s[4:5]
	v_add_f64 v[34:35], v[42:43], v[34:35]
	;; [unrolled: 2-line block ×3, first 2 shown]
	v_add_f64 v[40:41], v[190:191], v[40:41]
	v_add_f64 v[44:45], v[46:47], v[34:35]
	v_add_f64 v[42:43], v[42:43], -v[188:189]
	v_mul_f64 v[188:189], v[132:133], s[24:25]
	v_mul_f64 v[190:191], v[126:127], s[48:49]
	v_fma_f64 v[46:47], v[84:85], s[52:53], v[58:59]
	v_mul_f64 v[126:127], v[126:127], s[26:27]
	v_fma_f64 v[58:59], v[84:85], s[6:7], v[58:59]
	v_add_f64 v[34:35], v[40:41], v[32:33]
	v_fma_f64 v[40:41], v[76:77], s[22:23], v[70:71]
	v_add_f64 v[32:33], v[42:43], v[44:45]
	v_fma_f64 v[44:45], v[88:89], s[18:19], -v[180:181]
	v_add_f64 v[36:37], v[40:41], v[36:37]
	v_fma_f64 v[40:41], v[86:87], s[24:25], -v[72:73]
	v_add_f64 v[38:39], v[40:41], v[38:39]
	v_fma_f64 v[40:41], v[84:85], s[50:51], v[140:141]
	v_add_f64 v[36:37], v[40:41], v[36:37]
	v_fma_f64 v[40:41], v[88:89], s[36:37], -v[142:143]
	v_add_f64 v[38:39], v[40:41], v[38:39]
	v_fma_f64 v[40:41], v[90:91], s[46:47], v[148:149]
	;; [unrolled: 4-line block ×7, first 2 shown]
	v_fma_f64 v[60:61], v[76:77], s[50:51], v[60:61]
	v_add_f64 v[40:41], v[40:41], v[152:153]
	v_mul_f64 v[152:153], v[116:117], s[18:19]
	v_add_f64 v[60:61], v[60:61], v[146:147]
	v_fma_f64 v[42:43], v[84:85], s[46:47], v[152:153]
	v_add_f64 v[40:41], v[42:43], v[40:41]
	v_fma_f64 v[42:43], v[90:91], s[40:41], v[172:173]
	;; [unrolled: 2-line block ×4, first 2 shown]
	v_add_f64 v[40:41], v[42:43], v[40:41]
	v_fma_f64 v[42:43], v[86:87], s[36:37], -v[178:179]
	v_add_f64 v[42:43], v[42:43], v[54:55]
	v_mul_f64 v[54:55], v[116:117], s[4:5]
	v_add_f64 v[42:43], v[44:45], v[42:43]
	v_fma_f64 v[44:45], v[92:93], s[4:5], -v[182:183]
	v_add_f64 v[42:43], v[44:45], v[42:43]
	v_fma_f64 v[44:45], v[96:97], s[14:15], -v[184:185]
	;; [unrolled: 2-line block ×3, first 2 shown]
	v_add_f64 v[42:43], v[44:45], v[42:43]
	v_fma_f64 v[44:45], v[102:103], s[48:49], v[188:189]
	v_add_f64 v[40:41], v[44:45], v[40:41]
	v_fma_f64 v[44:45], v[104:105], s[24:25], -v[190:191]
	v_add_f64 v[44:45], v[44:45], v[42:43]
	v_fma_f64 v[42:43], v[106:107], s[52:53], v[192:193]
	v_add_f64 v[42:43], v[42:43], v[40:41]
	v_fma_f64 v[40:41], v[110:111], s[10:11], -v[194:195]
	v_add_f64 v[40:41], v[40:41], v[44:45]
	v_fma_f64 v[44:45], v[76:77], s[30:31], v[56:57]
	v_fma_f64 v[56:57], v[76:77], s[44:45], v[56:57]
	v_add_f64 v[44:45], v[44:45], v[144:145]
	v_mul_f64 v[144:145], v[78:79], s[30:31]
	v_mul_f64 v[78:79], v[78:79], s[46:47]
	v_add_f64 v[56:57], v[56:57], v[138:139]
	v_add_f64 v[44:45], v[46:47], v[44:45]
	v_fma_f64 v[46:47], v[86:87], s[38:39], -v[144:145]
	v_add_f64 v[56:57], v[58:59], v[56:57]
	v_fma_f64 v[58:59], v[86:87], s[38:39], v[144:145]
	v_add_f64 v[44:45], v[48:49], v[44:45]
	v_add_f64 v[46:47], v[46:47], v[52:53]
	v_fma_f64 v[48:49], v[88:89], s[10:11], -v[198:199]
	v_mul_f64 v[52:53], v[114:115], s[18:19]
	v_fma_f64 v[114:115], v[84:85], s[12:13], v[54:55]
	v_fma_f64 v[54:55], v[84:85], s[40:41], v[54:55]
	v_add_f64 v[58:59], v[58:59], v[64:65]
	v_fma_f64 v[64:65], v[110:111], s[24:25], v[219:220]
	v_add_f64 v[46:47], v[48:49], v[46:47]
	;; [unrolled: 2-line block ×3, first 2 shown]
	v_fma_f64 v[48:49], v[92:93], s[14:15], -v[202:203]
	v_add_f64 v[46:47], v[48:49], v[46:47]
	v_fma_f64 v[48:49], v[98:99], s[0:1], v[204:205]
	v_add_f64 v[44:45], v[48:49], v[44:45]
	v_fma_f64 v[48:49], v[96:97], s[36:37], -v[206:207]
	v_add_f64 v[46:47], v[48:49], v[46:47]
	v_fma_f64 v[48:49], v[102:103], s[12:13], v[211:212]
	v_add_f64 v[44:45], v[48:49], v[44:45]
	v_fma_f64 v[48:49], v[100:101], s[16:17], -v[213:214]
	v_add_f64 v[46:47], v[48:49], v[46:47]
	v_fma_f64 v[48:49], v[104:105], s[4:5], -v[215:216]
	v_add_f64 v[48:49], v[48:49], v[46:47]
	v_fma_f64 v[46:47], v[106:107], s[22:23], v[217:218]
	v_add_f64 v[46:47], v[46:47], v[44:45]
	v_fma_f64 v[44:45], v[110:111], s[24:25], -v[219:220]
	v_add_f64 v[44:45], v[44:45], v[48:49]
	v_fma_f64 v[48:49], v[76:77], s[46:47], v[52:53]
	v_fma_f64 v[52:53], v[76:77], s[20:21], v[52:53]
	v_add_f64 v[48:49], v[48:49], v[136:137]
	v_add_f64 v[52:53], v[52:53], v[74:75]
	v_fma_f64 v[74:75], v[86:87], s[18:19], v[78:79]
	v_add_f64 v[48:49], v[114:115], v[48:49]
	v_mul_f64 v[114:115], v[120:121], s[38:39]
	v_add_f64 v[62:63], v[74:75], v[62:63]
	v_add_f64 v[52:53], v[54:55], v[52:53]
	v_fma_f64 v[54:55], v[88:89], s[4:5], v[108:109]
	v_fma_f64 v[74:75], v[110:111], s[14:15], v[130:131]
	;; [unrolled: 1-line block ×3, first 2 shown]
	v_add_f64 v[54:55], v[54:55], v[62:63]
	v_fma_f64 v[62:63], v[90:91], s[30:31], v[114:115]
	v_add_f64 v[48:49], v[116:117], v[48:49]
	v_fma_f64 v[116:117], v[86:87], s[18:19], -v[78:79]
	v_add_f64 v[52:53], v[62:63], v[52:53]
	v_add_f64 v[50:51], v[116:117], v[50:51]
	v_mul_f64 v[116:117], v[124:125], s[16:17]
	v_fma_f64 v[120:121], v[94:95], s[0:1], v[116:117]
	v_fma_f64 v[62:63], v[94:95], s[28:29], v[116:117]
	v_add_f64 v[48:49], v[120:121], v[48:49]
	v_fma_f64 v[120:121], v[88:89], s[4:5], -v[108:109]
	v_add_f64 v[52:53], v[62:63], v[52:53]
	v_fma_f64 v[62:63], v[92:93], s[38:39], v[112:113]
	v_add_f64 v[50:51], v[120:121], v[50:51]
	v_mul_f64 v[120:121], v[128:129], s[10:11]
	v_add_f64 v[54:55], v[62:63], v[54:55]
	v_fma_f64 v[124:125], v[98:99], s[6:7], v[120:121]
	v_fma_f64 v[62:63], v[98:99], s[52:53], v[120:121]
	v_add_f64 v[48:49], v[124:125], v[48:49]
	v_fma_f64 v[124:125], v[92:93], s[38:39], -v[112:113]
	v_add_f64 v[52:53], v[62:63], v[52:53]
	v_fma_f64 v[62:63], v[96:97], s[16:17], v[118:119]
	v_add_f64 v[50:51], v[124:125], v[50:51]
	v_fma_f64 v[124:125], v[96:97], s[16:17], -v[118:119]
	v_add_f64 v[54:55], v[62:63], v[54:55]
	v_add_f64 v[50:51], v[124:125], v[50:51]
	v_fma_f64 v[124:125], v[100:101], s[10:11], -v[122:123]
	v_add_f64 v[50:51], v[124:125], v[50:51]
	v_mul_f64 v[124:125], v[132:133], s[36:37]
	v_mul_f64 v[132:133], v[134:135], s[14:15]
	v_fma_f64 v[62:63], v[102:103], s[50:51], v[124:125]
	v_fma_f64 v[128:129], v[102:103], s[26:27], v[124:125]
	v_add_f64 v[52:53], v[62:63], v[52:53]
	v_fma_f64 v[62:63], v[100:101], s[10:11], v[122:123]
	v_add_f64 v[48:49], v[128:129], v[48:49]
	v_fma_f64 v[128:129], v[104:105], s[36:37], -v[126:127]
	v_add_f64 v[54:55], v[62:63], v[54:55]
	v_fma_f64 v[62:63], v[104:105], s[36:37], v[126:127]
	v_add_f64 v[128:129], v[128:129], v[50:51]
	v_fma_f64 v[50:51], v[106:107], s[42:43], v[132:133]
	;; [unrolled: 2-line block ×3, first 2 shown]
	v_add_f64 v[50:51], v[50:51], v[48:49]
	v_fma_f64 v[48:49], v[110:111], s[14:15], -v[130:131]
	v_add_f64 v[54:55], v[54:55], v[52:53]
	v_add_f64 v[52:53], v[74:75], v[62:63]
	v_fma_f64 v[62:63], v[90:91], s[42:43], v[196:197]
	v_add_f64 v[48:49], v[48:49], v[128:129]
	v_add_f64 v[56:57], v[62:63], v[56:57]
	v_fma_f64 v[62:63], v[88:89], s[10:11], v[198:199]
	v_add_f64 v[58:59], v[62:63], v[58:59]
	v_fma_f64 v[62:63], v[94:95], s[50:51], v[200:201]
	;; [unrolled: 2-line block ×9, first 2 shown]
	v_add_f64 v[58:59], v[58:59], v[56:57]
	v_add_f64 v[56:57], v[64:65], v[62:63]
	v_fma_f64 v[62:63], v[86:87], s[36:37], v[178:179]
	v_fma_f64 v[64:65], v[84:85], s[20:21], v[152:153]
	v_add_f64 v[62:63], v[62:63], v[66:67]
	v_add_f64 v[60:61], v[64:65], v[60:61]
	v_fma_f64 v[64:65], v[88:89], s[18:19], v[180:181]
	v_fma_f64 v[66:67], v[110:111], s[10:11], v[194:195]
	v_add_f64 v[62:63], v[64:65], v[62:63]
	v_fma_f64 v[64:65], v[90:91], s[12:13], v[172:173]
	v_add_f64 v[60:61], v[64:65], v[60:61]
	;; [unrolled: 2-line block ×10, first 2 shown]
	v_add_f64 v[60:61], v[66:67], v[64:65]
	v_fma_f64 v[64:65], v[76:77], s[48:49], v[70:71]
	v_fma_f64 v[66:67], v[86:87], s[24:25], v[72:73]
	;; [unrolled: 1-line block ×4, first 2 shown]
	v_add_f64 v[64:65], v[64:65], v[154:155]
	v_add_f64 v[66:67], v[66:67], v[68:69]
	v_fma_f64 v[68:69], v[90:91], s[20:21], v[148:149]
	v_add_f64 v[64:65], v[70:71], v[64:65]
	v_fma_f64 v[70:71], v[92:93], s[18:19], v[150:151]
	;; [unrolled: 2-line block ×10, first 2 shown]
	v_add_f64 v[70:71], v[70:71], v[66:67]
	v_add_f64 v[66:67], v[72:73], v[64:65]
	;; [unrolled: 1-line block ×3, first 2 shown]
	v_mul_u32_u24_e32 v68, 0x110, v80
	v_add3_u32 v68, 0, v68, v210
	ds_write_b128 v68, v[12:15]
	ds_write_b128 v68, v[28:31] offset:16
	ds_write_b128 v68, v[32:35] offset:32
	;; [unrolled: 1-line block ×16, first 2 shown]
.LBB0_18:
	s_or_b32 exec_lo, exec_lo, s33
	s_waitcnt lgkmcnt(0)
	s_barrier
	buffer_gl0_inv
	ds_read_b128 v[28:31], v209
	ds_read_b128 v[24:27], v81 offset:1360
	ds_read_b128 v[60:63], v81 offset:8704
	;; [unrolled: 1-line block ×14, first 2 shown]
	v_cmp_gt_u32_e64 s0, 17, v80
                                        ; implicit-def: $vgpr18_vgpr19
                                        ; implicit-def: $vgpr14_vgpr15
                                        ; implicit-def: $vgpr10_vgpr11
	s_and_saveexec_b32 s1, s0
	s_cbranch_execz .LBB0_20
; %bb.19:
	ds_read_b128 v[0:3], v81 offset:4080
	ds_read_b128 v[4:7], v81 offset:8432
	;; [unrolled: 1-line block ×5, first 2 shown]
.LBB0_20:
	s_or_b32 exec_lo, exec_lo, s1
	v_and_b32_e32 v84, 0xff, v80
	v_add_nc_u16 v85, v80, 0x55
	v_add_nc_u16 v87, v80, 0xaa
	s_mov_b32 s10, 0x134454ff
	s_mov_b32 s11, 0x3fee6f0e
	v_mul_lo_u16 v84, 0xf1, v84
	v_and_b32_e32 v86, 0xff, v85
	v_and_b32_e32 v88, 0xff, v87
	s_mov_b32 s15, 0xbfee6f0e
	s_mov_b32 s14, s10
	v_lshrrev_b16 v136, 12, v84
	v_mul_lo_u16 v84, 0xf1, v86
	s_mov_b32 s6, 0x4755a5e
	s_mov_b32 s7, 0x3fe2cf23
	;; [unrolled: 1-line block ×3, first 2 shown]
	v_mul_lo_u16 v86, v136, 17
	v_lshrrev_b16 v137, 12, v84
	v_mov_b32_e32 v84, 6
	v_and_b32_e32 v136, 0xffff, v136
	s_mov_b32 s12, s6
	v_sub_nc_u16 v138, v80, v86
	v_mul_lo_u16 v86, 0xf1, v88
	v_mul_lo_u16 v88, v137, 17
	v_and_b32_e32 v137, 0xffff, v137
	v_mad_u32_u24 v160, 0x550, v136, 0
	v_lshlrev_b32_sdwa v100, v84, v138 dst_sel:DWORD dst_unused:UNUSED_PAD src0_sel:DWORD src1_sel:BYTE_0
	v_lshrrev_b16 v139, 12, v86
	v_sub_nc_u16 v85, v85, v88
	v_mad_u32_u24 v184, 0x550, v137, 0
	s_mov_b32 s4, 0x372fe950
	s_clause 0x1
	global_load_dwordx4 v[88:91], v100, s[8:9]
	global_load_dwordx4 v[92:95], v100, s[8:9] offset:16
	v_mul_lo_u16 v86, v139, 17
	v_lshlrev_b32_sdwa v116, v84, v85 dst_sel:DWORD dst_unused:UNUSED_PAD src0_sel:DWORD src1_sel:BYTE_0
	s_clause 0x3
	global_load_dwordx4 v[96:99], v100, s[8:9] offset:32
	global_load_dwordx4 v[100:103], v100, s[8:9] offset:48
	global_load_dwordx4 v[104:107], v116, s[8:9]
	global_load_dwordx4 v[108:111], v116, s[8:9] offset:16
	v_sub_nc_u16 v86, v87, v86
	v_and_b32_e32 v139, 0xffff, v139
	s_mov_b32 s5, 0x3fd3c6ef
	v_lshlrev_b32_sdwa v87, v84, v86 dst_sel:DWORD dst_unused:UNUSED_PAD src0_sel:DWORD src1_sel:BYTE_0
	s_clause 0x5
	global_load_dwordx4 v[112:115], v116, s[8:9] offset:32
	global_load_dwordx4 v[116:119], v116, s[8:9] offset:48
	global_load_dwordx4 v[120:123], v87, s[8:9]
	global_load_dwordx4 v[124:127], v87, s[8:9] offset:16
	global_load_dwordx4 v[128:131], v87, s[8:9] offset:32
	;; [unrolled: 1-line block ×3, first 2 shown]
	v_mov_b32_e32 v87, 4
	v_mad_u32_u24 v185, 0x550, v139, 0
	s_waitcnt vmcnt(0) lgkmcnt(0)
	s_barrier
	buffer_gl0_inv
	v_lshlrev_b32_sdwa v161, v87, v138 dst_sel:DWORD dst_unused:UNUSED_PAD src0_sel:DWORD src1_sel:BYTE_0
	v_lshlrev_b32_sdwa v85, v87, v85 dst_sel:DWORD dst_unused:UNUSED_PAD src0_sel:DWORD src1_sel:BYTE_0
	;; [unrolled: 1-line block ×3, first 2 shown]
	v_add3_u32 v186, v160, v161, v210
	v_add3_u32 v85, v184, v85, v210
	;; [unrolled: 1-line block ×3, first 2 shown]
	v_mul_f64 v[136:137], v[78:79], v[90:91]
	v_mul_f64 v[90:91], v[76:77], v[90:91]
	;; [unrolled: 1-line block ×24, first 2 shown]
	v_fma_f64 v[76:77], v[76:77], v[88:89], -v[136:137]
	v_fma_f64 v[78:79], v[78:79], v[88:89], v[90:91]
	v_fma_f64 v[60:61], v[60:61], v[92:93], -v[138:139]
	v_fma_f64 v[62:63], v[62:63], v[92:93], v[94:95]
	;; [unrolled: 2-line block ×12, first 2 shown]
	v_add_f64 v[88:89], v[28:29], v[76:77]
	v_add_f64 v[96:97], v[76:77], -v[60:61]
	v_add_f64 v[90:91], v[60:61], v[72:73]
	v_add_f64 v[106:107], v[30:31], v[78:79]
	v_add_f64 v[98:99], v[56:57], -v[72:73]
	v_add_f64 v[108:109], v[62:63], v[74:75]
	v_add_f64 v[100:101], v[76:77], v[56:57]
	;; [unrolled: 1-line block ×3, first 2 shown]
	v_add_f64 v[102:103], v[60:61], -v[76:77]
	v_add_f64 v[104:105], v[72:73], -v[56:57]
	v_add_f64 v[120:121], v[24:25], v[64:65]
	v_add_f64 v[122:123], v[36:37], v[68:69]
	v_add_f64 v[138:139], v[26:27], v[66:67]
	v_add_f64 v[140:141], v[38:39], v[70:71]
	v_add_f64 v[132:133], v[64:65], v[32:33]
	v_add_f64 v[148:149], v[66:67], v[34:35]
	v_add_f64 v[112:113], v[78:79], -v[62:63]
	v_add_f64 v[114:115], v[58:59], -v[74:75]
	v_add_f64 v[152:153], v[20:21], v[44:45]
	v_add_f64 v[154:155], v[48:49], v[52:53]
	;; [unrolled: 1-line block ×6, first 2 shown]
	v_add_f64 v[92:93], v[78:79], -v[58:59]
	v_add_f64 v[94:95], v[62:63], -v[74:75]
	;; [unrolled: 1-line block ×11, first 2 shown]
	v_add_f64 v[60:61], v[88:89], v[60:61]
	v_fma_f64 v[88:89], v[90:91], -0.5, v[28:29]
	v_add_f64 v[90:91], v[96:97], v[98:99]
	v_add_f64 v[62:63], v[106:107], v[62:63]
	v_fma_f64 v[98:99], v[108:109], -0.5, v[30:31]
	v_fma_f64 v[28:29], v[100:101], -0.5, v[28:29]
	;; [unrolled: 1-line block ×3, first 2 shown]
	v_add_f64 v[124:125], v[66:67], -v[34:35]
	v_add_f64 v[126:127], v[38:39], -v[70:71]
	;; [unrolled: 1-line block ×7, first 2 shown]
	v_add_f64 v[96:97], v[102:103], v[104:105]
	v_add_f64 v[36:37], v[120:121], v[36:37]
	v_fma_f64 v[102:103], v[122:123], -0.5, v[24:25]
	v_add_f64 v[38:39], v[138:139], v[38:39]
	v_fma_f64 v[108:109], v[140:141], -0.5, v[26:27]
	v_add_f64 v[136:137], v[68:69], -v[32:33]
	v_fma_f64 v[24:25], v[132:133], -0.5, v[24:25]
	v_fma_f64 v[26:27], v[148:149], -0.5, v[26:27]
	v_add_f64 v[158:159], v[50:51], -v[54:55]
	v_add_f64 v[160:161], v[44:45], -v[48:49]
	;; [unrolled: 1-line block ×5, first 2 shown]
	v_add_f64 v[100:101], v[112:113], v[114:115]
	v_add_f64 v[48:49], v[152:153], v[48:49]
	v_fma_f64 v[114:115], v[154:155], -0.5, v[20:21]
	v_add_f64 v[50:51], v[170:171], v[50:51]
	v_fma_f64 v[120:121], v[172:173], -0.5, v[22:23]
	v_add_f64 v[146:147], v[34:35], -v[70:71]
	v_fma_f64 v[20:21], v[164:165], -0.5, v[20:21]
	v_fma_f64 v[22:23], v[180:181], -0.5, v[22:23]
	v_add_f64 v[118:119], v[74:75], -v[58:59]
	v_add_f64 v[104:105], v[128:129], v[130:131]
	v_add_f64 v[128:129], v[46:47], v[182:183]
	;; [unrolled: 1-line block ×3, first 2 shown]
	v_fma_f64 v[60:61], v[92:93], s[10:11], v[88:89]
	v_add_f64 v[62:63], v[62:63], v[74:75]
	v_fma_f64 v[74:75], v[76:77], s[14:15], v[98:99]
	v_fma_f64 v[72:73], v[92:93], s[14:15], v[88:89]
	;; [unrolled: 1-line block ×7, first 2 shown]
	v_add_f64 v[150:151], v[70:71], -v[34:35]
	v_add_f64 v[36:37], v[36:37], v[68:69]
	v_fma_f64 v[68:69], v[124:125], s[10:11], v[102:103]
	v_add_f64 v[38:39], v[38:39], v[70:71]
	v_fma_f64 v[70:71], v[64:65], s[14:15], v[108:109]
	;; [unrolled: 2-line block ×3, first 2 shown]
	v_fma_f64 v[132:133], v[126:127], s[14:15], v[24:25]
	v_fma_f64 v[136:137], v[142:143], s[10:11], v[26:27]
	;; [unrolled: 1-line block ×5, first 2 shown]
	v_add_f64 v[162:163], v[40:41], -v[52:53]
	v_add_f64 v[168:169], v[52:53], -v[40:41]
	;; [unrolled: 1-line block ×3, first 2 shown]
	v_add_f64 v[48:49], v[48:49], v[52:53]
	v_fma_f64 v[52:53], v[156:157], s[10:11], v[114:115]
	v_add_f64 v[50:51], v[50:51], v[54:55]
	v_fma_f64 v[54:55], v[44:45], s[14:15], v[120:121]
	;; [unrolled: 2-line block ×3, first 2 shown]
	v_fma_f64 v[140:141], v[158:159], s[14:15], v[20:21]
	v_fma_f64 v[146:147], v[174:175], s[10:11], v[22:23]
	;; [unrolled: 1-line block ×5, first 2 shown]
	v_add_f64 v[20:21], v[46:47], v[56:57]
	v_fma_f64 v[46:47], v[94:95], s[6:7], v[60:61]
	v_add_f64 v[22:23], v[62:63], v[58:59]
	v_fma_f64 v[58:59], v[110:111], s[12:13], v[74:75]
	;; [unrolled: 2-line block ×3, first 2 shown]
	v_fma_f64 v[74:75], v[76:77], s[12:13], v[130:131]
	v_fma_f64 v[56:57], v[94:95], s[12:13], v[72:73]
	;; [unrolled: 1-line block ×7, first 2 shown]
	v_add_f64 v[66:67], v[66:67], v[150:151]
	v_fma_f64 v[88:89], v[126:127], s[12:13], v[102:103]
	v_fma_f64 v[92:93], v[124:125], s[6:7], v[132:133]
	;; [unrolled: 1-line block ×6, first 2 shown]
	v_add_f64 v[116:117], v[160:161], v[162:163]
	v_add_f64 v[122:123], v[176:177], v[178:179]
	v_fma_f64 v[108:109], v[158:159], s[6:7], v[52:53]
	v_fma_f64 v[126:127], v[174:175], s[12:13], v[54:55]
	v_add_f64 v[118:119], v[166:167], v[168:169]
	v_fma_f64 v[110:111], v[158:159], s[12:13], v[114:115]
	v_fma_f64 v[114:115], v[156:157], s[6:7], v[140:141]
	;; [unrolled: 1-line block ×6, first 2 shown]
	v_add_f64 v[24:25], v[36:37], v[32:33]
	v_add_f64 v[26:27], v[38:39], v[34:35]
	v_fma_f64 v[32:33], v[90:91], s[4:5], v[46:47]
	v_fma_f64 v[34:35], v[100:101], s[4:5], v[58:59]
	v_add_f64 v[28:29], v[48:49], v[40:41]
	v_add_f64 v[30:31], v[50:51], v[42:43]
	v_fma_f64 v[40:41], v[96:97], s[4:5], v[60:61]
	v_fma_f64 v[42:43], v[78:79], s[4:5], v[74:75]
	;; [unrolled: 1-line block ×22, first 2 shown]
	ds_write_b128 v186, v[20:23]
	ds_write_b128 v186, v[32:35] offset:272
	ds_write_b128 v186, v[40:43] offset:544
	ds_write_b128 v186, v[44:47] offset:816
	ds_write_b128 v186, v[36:39] offset:1088
	ds_write_b128 v85, v[24:27]
	ds_write_b128 v85, v[48:51] offset:272
	ds_write_b128 v85, v[56:59] offset:544
	ds_write_b128 v85, v[60:63] offset:816
	ds_write_b128 v85, v[52:55] offset:1088
	;; [unrolled: 5-line block ×3, first 2 shown]
	s_and_saveexec_b32 s1, s0
	s_cbranch_execz .LBB0_22
; %bb.21:
	v_add_nc_u32_e32 v20, 0xff, v80
	v_mov_b32_e32 v21, 0xf0f1
	v_mul_u32_u24_sdwa v21, v20, v21 dst_sel:DWORD dst_unused:UNUSED_PAD src0_sel:WORD_0 src1_sel:DWORD
	v_lshrrev_b32_e32 v21, 20, v21
	v_mul_lo_u16 v21, v21, 17
	v_sub_nc_u16 v52, v20, v21
	v_lshlrev_b32_sdwa v32, v84, v52 dst_sel:DWORD dst_unused:UNUSED_PAD src0_sel:DWORD src1_sel:WORD_0
	s_clause 0x3
	global_load_dwordx4 v[20:23], v32, s[8:9] offset:16
	global_load_dwordx4 v[24:27], v32, s[8:9]
	global_load_dwordx4 v[28:31], v32, s[8:9] offset:48
	global_load_dwordx4 v[32:35], v32, s[8:9] offset:32
	s_waitcnt vmcnt(3)
	v_mul_f64 v[36:37], v[8:9], v[22:23]
	s_waitcnt vmcnt(2)
	v_mul_f64 v[38:39], v[4:5], v[26:27]
	;; [unrolled: 2-line block ×4, first 2 shown]
	v_mul_f64 v[22:23], v[10:11], v[22:23]
	v_mul_f64 v[34:35], v[14:15], v[34:35]
	;; [unrolled: 1-line block ×4, first 2 shown]
	v_fma_f64 v[10:11], v[10:11], v[20:21], v[36:37]
	v_fma_f64 v[6:7], v[6:7], v[24:25], v[38:39]
	;; [unrolled: 1-line block ×4, first 2 shown]
	v_fma_f64 v[8:9], v[8:9], v[20:21], -v[22:23]
	v_fma_f64 v[12:13], v[12:13], v[32:33], -v[34:35]
	;; [unrolled: 1-line block ×4, first 2 shown]
	v_add_f64 v[32:33], v[2:3], v[6:7]
	v_add_f64 v[20:21], v[6:7], v[18:19]
	;; [unrolled: 1-line block ×3, first 2 shown]
	v_add_f64 v[36:37], v[10:11], -v[14:15]
	v_add_f64 v[24:25], v[8:9], v[12:13]
	v_add_f64 v[34:35], v[0:1], v[4:5]
	;; [unrolled: 1-line block ×3, first 2 shown]
	v_add_f64 v[28:29], v[4:5], -v[16:17]
	v_add_f64 v[30:31], v[8:9], -v[12:13]
	v_add_f64 v[38:39], v[14:15], -v[18:19]
	v_add_f64 v[40:41], v[18:19], -v[14:15]
	v_add_f64 v[42:43], v[8:9], -v[4:5]
	v_add_f64 v[44:45], v[12:13], -v[16:17]
	v_add_f64 v[4:5], v[4:5], -v[8:9]
	v_add_f64 v[46:47], v[16:17], -v[12:13]
	v_fma_f64 v[20:21], v[20:21], -0.5, v[2:3]
	v_fma_f64 v[2:3], v[22:23], -0.5, v[2:3]
	v_add_f64 v[22:23], v[6:7], -v[18:19]
	v_fma_f64 v[24:25], v[24:25], -0.5, v[0:1]
	v_add_f64 v[8:9], v[34:35], v[8:9]
	v_fma_f64 v[0:1], v[26:27], -0.5, v[0:1]
	v_add_f64 v[26:27], v[10:11], -v[6:7]
	v_add_f64 v[6:7], v[6:7], -v[10:11]
	v_add_f64 v[10:11], v[32:33], v[10:11]
	v_fma_f64 v[32:33], v[30:31], s[14:15], v[20:21]
	v_fma_f64 v[20:21], v[30:31], s[10:11], v[20:21]
	;; [unrolled: 1-line block ×8, first 2 shown]
	v_add_f64 v[26:27], v[26:27], v[38:39]
	v_add_f64 v[38:39], v[6:7], v[40:41]
	;; [unrolled: 1-line block ×6, first 2 shown]
	v_fma_f64 v[8:9], v[28:29], s[6:7], v[32:33]
	v_fma_f64 v[10:11], v[28:29], s[12:13], v[20:21]
	;; [unrolled: 1-line block ×8, first 2 shown]
	v_add_f64 v[2:3], v[4:5], v[18:19]
	v_add_f64 v[0:1], v[6:7], v[16:17]
	v_fma_f64 v[6:7], v[26:27], s[4:5], v[8:9]
	v_fma_f64 v[10:11], v[26:27], s[4:5], v[10:11]
	;; [unrolled: 1-line block ×8, first 2 shown]
	v_lshlrev_b32_sdwa v20, v87, v52 dst_sel:DWORD dst_unused:UNUSED_PAD src0_sel:DWORD src1_sel:WORD_0
	v_add3_u32 v20, 0, v20, v210
	ds_write_b128 v20, v[0:3] offset:20400
	ds_write_b128 v20, v[16:19] offset:20672
	;; [unrolled: 1-line block ×5, first 2 shown]
.LBB0_22:
	s_or_b32 exec_lo, exec_lo, s1
	v_mul_u32_u24_e32 v0, 15, v80
	s_waitcnt lgkmcnt(0)
	s_barrier
	buffer_gl0_inv
	s_mov_b32 s0, 0x667f3bcd
	v_lshlrev_b32_e32 v56, 4, v0
	s_mov_b32 s1, 0xbfe6a09e
	s_mov_b32 s5, 0x3fe6a09e
	;; [unrolled: 1-line block ×4, first 2 shown]
	s_clause 0xe
	global_load_dwordx4 v[0:3], v56, s[8:9] offset:1088
	global_load_dwordx4 v[4:7], v56, s[8:9] offset:1104
	global_load_dwordx4 v[8:11], v56, s[8:9] offset:1120
	global_load_dwordx4 v[12:15], v56, s[8:9] offset:1136
	global_load_dwordx4 v[16:19], v56, s[8:9] offset:1152
	global_load_dwordx4 v[20:23], v56, s[8:9] offset:1168
	global_load_dwordx4 v[24:27], v56, s[8:9] offset:1184
	global_load_dwordx4 v[28:31], v56, s[8:9] offset:1200
	global_load_dwordx4 v[32:35], v56, s[8:9] offset:1216
	global_load_dwordx4 v[36:39], v56, s[8:9] offset:1232
	global_load_dwordx4 v[40:43], v56, s[8:9] offset:1248
	global_load_dwordx4 v[44:47], v56, s[8:9] offset:1264
	global_load_dwordx4 v[48:51], v56, s[8:9] offset:1280
	global_load_dwordx4 v[52:55], v56, s[8:9] offset:1296
	global_load_dwordx4 v[56:59], v56, s[8:9] offset:1312
	ds_read_b128 v[60:63], v81 offset:1360
	ds_read_b128 v[64:67], v81 offset:2720
	;; [unrolled: 1-line block ×5, first 2 shown]
	ds_read_b128 v[84:87], v209
	ds_read_b128 v[88:91], v81 offset:8160
	ds_read_b128 v[92:95], v81 offset:9520
	;; [unrolled: 1-line block ×10, first 2 shown]
	s_mov_b32 s7, 0xbfed906b
	s_mov_b32 s13, 0x3fed906b
	;; [unrolled: 1-line block ×7, first 2 shown]
	s_waitcnt vmcnt(0) lgkmcnt(0)
	s_barrier
	buffer_gl0_inv
	v_mul_f64 v[128:129], v[62:63], v[2:3]
	v_mul_f64 v[2:3], v[60:61], v[2:3]
	;; [unrolled: 1-line block ×30, first 2 shown]
	v_fma_f64 v[60:61], v[60:61], v[0:1], -v[128:129]
	v_fma_f64 v[0:1], v[62:63], v[0:1], v[2:3]
	v_fma_f64 v[2:3], v[64:65], v[4:5], -v[130:131]
	v_fma_f64 v[4:5], v[66:67], v[4:5], v[6:7]
	;; [unrolled: 2-line block ×14, first 2 shown]
	v_fma_f64 v[42:43], v[126:127], v[56:57], v[58:59]
	v_fma_f64 v[56:57], v[124:125], v[56:57], -v[156:157]
	v_add_f64 v[26:27], v[84:85], -v[26:27]
	v_add_f64 v[28:29], v[86:87], -v[28:29]
	v_add_f64 v[30:31], v[10:11], -v[30:31]
	v_add_f64 v[44:45], v[12:13], -v[44:45]
	v_add_f64 v[46:47], v[2:3], -v[46:47]
	v_add_f64 v[36:37], v[4:5], -v[36:37]
	v_add_f64 v[38:39], v[18:19], -v[38:39]
	v_add_f64 v[52:53], v[20:21], -v[52:53]
	v_add_f64 v[54:55], v[60:61], -v[54:55]
	v_add_f64 v[32:33], v[0:1], -v[32:33]
	v_add_f64 v[34:35], v[14:15], -v[34:35]
	v_add_f64 v[48:49], v[16:17], -v[48:49]
	v_add_f64 v[50:51], v[6:7], -v[50:51]
	v_add_f64 v[40:41], v[8:9], -v[40:41]
	v_add_f64 v[42:43], v[24:25], -v[42:43]
	v_add_f64 v[56:57], v[22:23], -v[56:57]
	v_fma_f64 v[58:59], v[84:85], 2.0, -v[26:27]
	v_fma_f64 v[62:63], v[86:87], 2.0, -v[28:29]
	;; [unrolled: 1-line block ×3, first 2 shown]
	v_add_f64 v[64:65], v[26:27], -v[44:45]
	v_add_f64 v[30:31], v[28:29], v[30:31]
	v_fma_f64 v[12:13], v[12:13], 2.0, -v[44:45]
	v_add_f64 v[68:69], v[36:37], v[38:39]
	v_add_f64 v[66:67], v[46:47], -v[52:53]
	v_fma_f64 v[2:3], v[2:3], 2.0, -v[46:47]
	v_fma_f64 v[4:5], v[4:5], 2.0, -v[36:37]
	v_add_f64 v[72:73], v[32:33], v[34:35]
	v_add_f64 v[70:71], v[54:55], -v[48:49]
	v_fma_f64 v[18:19], v[18:19], 2.0, -v[38:39]
	v_fma_f64 v[20:21], v[20:21], 2.0, -v[52:53]
	v_add_f64 v[74:75], v[50:51], -v[42:43]
	v_add_f64 v[76:77], v[40:41], v[56:57]
	v_fma_f64 v[38:39], v[60:61], 2.0, -v[54:55]
	v_fma_f64 v[0:1], v[0:1], 2.0, -v[32:33]
	;; [unrolled: 1-line block ×8, first 2 shown]
	v_add_f64 v[10:11], v[58:59], -v[10:11]
	v_fma_f64 v[26:27], v[26:27], 2.0, -v[64:65]
	v_fma_f64 v[28:29], v[28:29], 2.0, -v[30:31]
	v_add_f64 v[12:13], v[62:63], -v[12:13]
	v_fma_f64 v[36:37], v[36:37], 2.0, -v[68:69]
	v_fma_f64 v[34:35], v[46:47], 2.0, -v[66:67]
	v_fma_f64 v[48:49], v[68:69], s[4:5], v[30:31]
	v_fma_f64 v[46:47], v[66:67], s[4:5], v[64:65]
	v_fma_f64 v[32:33], v[32:33], 2.0, -v[72:73]
	v_fma_f64 v[42:43], v[54:55], 2.0, -v[70:71]
	v_add_f64 v[18:19], v[2:3], -v[18:19]
	v_add_f64 v[20:21], v[4:5], -v[20:21]
	v_fma_f64 v[44:45], v[50:51], 2.0, -v[74:75]
	v_fma_f64 v[40:41], v[40:41], 2.0, -v[76:77]
	v_fma_f64 v[50:51], v[74:75], s[4:5], v[70:71]
	v_fma_f64 v[52:53], v[76:77], s[4:5], v[72:73]
	v_add_f64 v[14:15], v[38:39], -v[14:15]
	v_add_f64 v[16:17], v[0:1], -v[16:17]
	v_add_f64 v[22:23], v[6:7], -v[22:23]
	v_add_f64 v[24:25], v[8:9], -v[24:25]
	v_fma_f64 v[58:59], v[58:59], 2.0, -v[10:11]
	v_fma_f64 v[62:63], v[62:63], 2.0, -v[12:13]
	v_fma_f64 v[56:57], v[36:37], s[0:1], v[28:29]
	v_fma_f64 v[54:55], v[34:35], s[0:1], v[26:27]
	;; [unrolled: 1-line block ×4, first 2 shown]
	v_fma_f64 v[2:3], v[2:3], 2.0, -v[18:19]
	v_fma_f64 v[4:5], v[4:5], 2.0, -v[20:21]
	v_fma_f64 v[60:61], v[44:45], s[0:1], v[42:43]
	v_fma_f64 v[78:79], v[40:41], s[0:1], v[32:33]
	v_add_f64 v[84:85], v[10:11], -v[20:21]
	v_add_f64 v[86:87], v[12:13], v[18:19]
	v_fma_f64 v[38:39], v[38:39], 2.0, -v[14:15]
	v_fma_f64 v[0:1], v[0:1], 2.0, -v[16:17]
	;; [unrolled: 1-line block ×4, first 2 shown]
	v_add_f64 v[18:19], v[14:15], -v[24:25]
	v_add_f64 v[20:21], v[16:17], v[22:23]
	v_fma_f64 v[22:23], v[76:77], s[0:1], v[50:51]
	v_fma_f64 v[24:25], v[74:75], s[4:5], v[52:53]
	;; [unrolled: 1-line block ×4, first 2 shown]
	v_fma_f64 v[56:57], v[30:31], 2.0, -v[48:49]
	v_fma_f64 v[54:55], v[64:65], 2.0, -v[46:47]
	v_fma_f64 v[34:35], v[40:41], s[0:1], v[60:61]
	v_fma_f64 v[36:37], v[44:45], s[4:5], v[78:79]
	v_add_f64 v[40:41], v[58:59], -v[2:3]
	v_add_f64 v[44:45], v[62:63], -v[4:5]
	v_fma_f64 v[50:51], v[10:11], 2.0, -v[84:85]
	v_fma_f64 v[52:53], v[12:13], 2.0, -v[86:87]
	v_add_f64 v[2:3], v[38:39], -v[6:7]
	v_add_f64 v[4:5], v[0:1], -v[8:9]
	v_fma_f64 v[30:31], v[14:15], 2.0, -v[18:19]
	v_fma_f64 v[16:17], v[16:17], 2.0, -v[20:21]
	;; [unrolled: 1-line block ×6, first 2 shown]
	v_fma_f64 v[6:7], v[18:19], s[4:5], v[84:85]
	v_fma_f64 v[8:9], v[20:21], s[4:5], v[86:87]
	;; [unrolled: 1-line block ×4, first 2 shown]
	v_fma_f64 v[42:43], v[42:43], 2.0, -v[34:35]
	v_fma_f64 v[28:29], v[32:33], 2.0, -v[36:37]
	;; [unrolled: 1-line block ×4, first 2 shown]
	v_fma_f64 v[78:79], v[34:35], s[10:11], v[66:67]
	v_fma_f64 v[88:89], v[36:37], s[10:11], v[68:69]
	v_fma_f64 v[14:15], v[38:39], 2.0, -v[2:3]
	v_fma_f64 v[26:27], v[0:1], 2.0, -v[4:5]
	v_fma_f64 v[32:33], v[30:31], s[0:1], v[50:51]
	v_fma_f64 v[38:39], v[16:17], s[0:1], v[52:53]
	;; [unrolled: 1-line block ×4, first 2 shown]
	v_add_f64 v[0:1], v[40:41], -v[4:5]
	v_add_f64 v[2:3], v[44:45], v[2:3]
	v_fma_f64 v[4:5], v[20:21], s[0:1], v[6:7]
	v_fma_f64 v[6:7], v[18:19], s[4:5], v[8:9]
	;; [unrolled: 1-line block ×7, first 2 shown]
	v_add_f64 v[12:13], v[58:59], -v[14:15]
	v_add_f64 v[14:15], v[62:63], -v[26:27]
	v_fma_f64 v[16:17], v[16:17], s[0:1], v[32:33]
	v_fma_f64 v[18:19], v[30:31], s[4:5], v[38:39]
	;; [unrolled: 1-line block ×5, first 2 shown]
	v_fma_f64 v[32:33], v[40:41], 2.0, -v[0:1]
	v_fma_f64 v[34:35], v[44:45], 2.0, -v[2:3]
	;; [unrolled: 1-line block ×5, first 2 shown]
	v_fma_f64 v[28:29], v[28:29], s[8:9], v[90:91]
	v_fma_f64 v[30:31], v[42:43], s[10:11], v[92:93]
	v_fma_f64 v[42:43], v[48:49], 2.0, -v[10:11]
	v_fma_f64 v[44:45], v[58:59], 2.0, -v[12:13]
	;; [unrolled: 1-line block ×11, first 2 shown]
	ds_write_b128 v81, v[0:3] offset:16320
	ds_write_b128 v81, v[4:7] offset:19040
	ds_write_b128 v81, v[8:11] offset:20400
	ds_write_b128 v81, v[32:35] offset:5440
	ds_write_b128 v81, v[36:39] offset:8160
	ds_write_b128 v81, v[40:43] offset:9520
	ds_write_b128 v81, v[12:15] offset:10880
	ds_write_b128 v81, v[16:19] offset:13600
	ds_write_b128 v81, v[20:23] offset:14960
	ds_write_b128 v81, v[24:27] offset:17680
	ds_write_b128 v81, v[44:47]
	ds_write_b128 v81, v[48:51] offset:2720
	ds_write_b128 v81, v[52:55] offset:4080
	;; [unrolled: 1-line block ×5, first 2 shown]
	s_waitcnt lgkmcnt(0)
	s_barrier
	buffer_gl0_inv
	s_and_saveexec_b32 s0, vcc_lo
	s_cbranch_execz .LBB0_24
; %bb.23:
	v_lshl_add_u32 v30, v80, 4, v208
	v_mov_b32_e32 v81, 0
	v_add_co_u32 v31, vcc_lo, s2, v82
	v_add_nc_u32_e32 v8, 0x55, v80
	ds_read_b128 v[0:3], v30
	ds_read_b128 v[4:7], v30 offset:1360
	v_lshlrev_b64 v[10:11], 4, v[80:81]
	v_mov_b32_e32 v9, v81
	v_add_co_ci_u32_e32 v32, vcc_lo, s3, v83, vcc_lo
	v_add_nc_u32_e32 v16, 0xaa, v80
	v_mov_b32_e32 v17, v81
	v_add_co_u32 v20, vcc_lo, v31, v10
	v_lshlrev_b64 v[22:23], 4, v[8:9]
	v_add_nc_u32_e32 v18, 0xff, v80
	v_mov_b32_e32 v19, v81
	v_add_co_ci_u32_e32 v21, vcc_lo, v32, v11, vcc_lo
	ds_read_b128 v[8:11], v30 offset:2720
	ds_read_b128 v[12:15], v30 offset:4080
	v_lshlrev_b64 v[16:17], 4, v[16:17]
	v_lshlrev_b64 v[18:19], 4, v[18:19]
	v_add_nc_u32_e32 v24, 0x154, v80
	v_mov_b32_e32 v25, v81
	s_waitcnt lgkmcnt(3)
	global_store_dwordx4 v[20:21], v[0:3], off
	v_add_co_u32 v20, vcc_lo, v31, v22
	v_add_co_ci_u32_e32 v21, vcc_lo, v32, v23, vcc_lo
	v_add_co_u32 v22, vcc_lo, v31, v16
	v_add_co_ci_u32_e32 v23, vcc_lo, v32, v17, vcc_lo
	v_add_co_u32 v26, vcc_lo, v31, v18
	ds_read_b128 v[0:3], v30 offset:5440
	v_add_co_ci_u32_e32 v27, vcc_lo, v32, v19, vcc_lo
	ds_read_b128 v[16:19], v30 offset:6800
	v_add_nc_u32_e32 v28, 0x1a9, v80
	v_mov_b32_e32 v29, v81
	v_lshlrev_b64 v[24:25], 4, v[24:25]
	s_waitcnt lgkmcnt(4)
	global_store_dwordx4 v[20:21], v[4:7], off
	s_waitcnt lgkmcnt(3)
	global_store_dwordx4 v[22:23], v[8:11], off
	;; [unrolled: 2-line block ×3, first 2 shown]
	v_add_nc_u32_e32 v8, 0x1fe, v80
	v_mov_b32_e32 v9, v81
	v_lshlrev_b64 v[4:5], 4, v[28:29]
	v_add_nc_u32_e32 v10, 0x253, v80
	v_add_co_u32 v6, vcc_lo, v31, v24
	v_add_co_ci_u32_e32 v7, vcc_lo, v32, v25, vcc_lo
	v_add_co_u32 v4, vcc_lo, v31, v4
	v_add_co_ci_u32_e32 v5, vcc_lo, v32, v5, vcc_lo
	v_mov_b32_e32 v11, v81
	s_waitcnt lgkmcnt(1)
	global_store_dwordx4 v[6:7], v[0:3], off
	v_lshlrev_b64 v[12:13], 4, v[8:9]
	s_waitcnt lgkmcnt(0)
	global_store_dwordx4 v[4:5], v[16:19], off
	ds_read_b128 v[0:3], v30 offset:8160
	ds_read_b128 v[4:7], v30 offset:9520
	v_lshlrev_b64 v[14:15], 4, v[10:11]
	ds_read_b128 v[8:11], v30 offset:10880
	v_add_nc_u32_e32 v16, 0x2a8, v80
	v_mov_b32_e32 v17, v81
	v_add_co_u32 v20, vcc_lo, v31, v12
	v_add_co_ci_u32_e32 v21, vcc_lo, v32, v13, vcc_lo
	v_lshlrev_b64 v[12:13], 4, v[16:17]
	v_add_nc_u32_e32 v16, 0x2fd, v80
	v_add_co_u32 v22, vcc_lo, v31, v14
	v_add_co_ci_u32_e32 v23, vcc_lo, v32, v15, vcc_lo
	v_lshlrev_b64 v[26:27], 4, v[16:17]
	ds_read_b128 v[16:19], v30 offset:13600
	v_add_co_u32 v24, vcc_lo, v31, v12
	v_add_nc_u32_e32 v28, 0x352, v80
	v_add_co_ci_u32_e32 v25, vcc_lo, v32, v13, vcc_lo
	ds_read_b128 v[12:15], v30 offset:12240
	s_waitcnt lgkmcnt(4)
	global_store_dwordx4 v[20:21], v[0:3], off
	s_waitcnt lgkmcnt(3)
	global_store_dwordx4 v[22:23], v[4:7], off
	;; [unrolled: 2-line block ×3, first 2 shown]
	v_lshlrev_b64 v[0:1], 4, v[28:29]
	v_add_co_u32 v2, vcc_lo, v31, v26
	v_add_co_ci_u32_e32 v3, vcc_lo, v32, v27, vcc_lo
	v_add_nc_u32_e32 v4, 0x3a7, v80
	v_mov_b32_e32 v5, v81
	v_add_co_u32 v6, vcc_lo, v31, v0
	v_add_co_ci_u32_e32 v7, vcc_lo, v32, v1, vcc_lo
	v_add_nc_u32_e32 v8, 0x3fc, v80
	v_mov_b32_e32 v9, v81
	v_lshlrev_b64 v[4:5], 4, v[4:5]
	s_waitcnt lgkmcnt(1)
	global_store_dwordx4 v[6:7], v[16:19], off
	v_add_nc_u32_e32 v24, 0x4a6, v80
	v_mov_b32_e32 v25, v81
	v_lshlrev_b64 v[6:7], 4, v[8:9]
	s_waitcnt lgkmcnt(0)
	global_store_dwordx4 v[2:3], v[12:15], off
	v_add_co_u32 v20, vcc_lo, v31, v4
	v_add_nc_u32_e32 v12, 0x451, v80
	v_mov_b32_e32 v13, v81
	v_add_co_ci_u32_e32 v21, vcc_lo, v32, v5, vcc_lo
	v_add_co_u32 v22, vcc_lo, v31, v6
	ds_read_b128 v[0:3], v30 offset:14960
	v_add_co_ci_u32_e32 v23, vcc_lo, v32, v7, vcc_lo
	ds_read_b128 v[4:7], v30 offset:16320
	ds_read_b128 v[8:11], v30 offset:17680
	v_lshlrev_b64 v[26:27], 4, v[12:13]
	ds_read_b128 v[12:15], v30 offset:19040
	ds_read_b128 v[16:19], v30 offset:20400
	v_add_nc_u32_e32 v80, 0x4fb, v80
	v_lshlrev_b64 v[24:25], 4, v[24:25]
	v_add_co_u32 v26, vcc_lo, v31, v26
	v_lshlrev_b64 v[28:29], 4, v[80:81]
	v_add_co_ci_u32_e32 v27, vcc_lo, v32, v27, vcc_lo
	v_add_co_u32 v24, vcc_lo, v31, v24
	v_add_co_ci_u32_e32 v25, vcc_lo, v32, v25, vcc_lo
	v_add_co_u32 v28, vcc_lo, v31, v28
	v_add_co_ci_u32_e32 v29, vcc_lo, v32, v29, vcc_lo
	s_waitcnt lgkmcnt(4)
	global_store_dwordx4 v[20:21], v[0:3], off
	s_waitcnt lgkmcnt(3)
	global_store_dwordx4 v[22:23], v[4:7], off
	;; [unrolled: 2-line block ×5, first 2 shown]
.LBB0_24:
	s_endpgm
	.section	.rodata,"a",@progbits
	.p2align	6, 0x0
	.amdhsa_kernel fft_rtc_fwd_len1360_factors_17_5_16_wgs_255_tpt_85_halfLds_dp_ip_CI_unitstride_sbrr_C2R_dirReg
		.amdhsa_group_segment_fixed_size 0
		.amdhsa_private_segment_fixed_size 0
		.amdhsa_kernarg_size 88
		.amdhsa_user_sgpr_count 6
		.amdhsa_user_sgpr_private_segment_buffer 1
		.amdhsa_user_sgpr_dispatch_ptr 0
		.amdhsa_user_sgpr_queue_ptr 0
		.amdhsa_user_sgpr_kernarg_segment_ptr 1
		.amdhsa_user_sgpr_dispatch_id 0
		.amdhsa_user_sgpr_flat_scratch_init 0
		.amdhsa_user_sgpr_private_segment_size 0
		.amdhsa_wavefront_size32 1
		.amdhsa_uses_dynamic_stack 0
		.amdhsa_system_sgpr_private_segment_wavefront_offset 0
		.amdhsa_system_sgpr_workgroup_id_x 1
		.amdhsa_system_sgpr_workgroup_id_y 0
		.amdhsa_system_sgpr_workgroup_id_z 0
		.amdhsa_system_sgpr_workgroup_info 0
		.amdhsa_system_vgpr_workitem_id 0
		.amdhsa_next_free_vgpr 227
		.amdhsa_next_free_sgpr 54
		.amdhsa_reserve_vcc 1
		.amdhsa_reserve_flat_scratch 0
		.amdhsa_float_round_mode_32 0
		.amdhsa_float_round_mode_16_64 0
		.amdhsa_float_denorm_mode_32 3
		.amdhsa_float_denorm_mode_16_64 3
		.amdhsa_dx10_clamp 1
		.amdhsa_ieee_mode 1
		.amdhsa_fp16_overflow 0
		.amdhsa_workgroup_processor_mode 1
		.amdhsa_memory_ordered 1
		.amdhsa_forward_progress 0
		.amdhsa_shared_vgpr_count 0
		.amdhsa_exception_fp_ieee_invalid_op 0
		.amdhsa_exception_fp_denorm_src 0
		.amdhsa_exception_fp_ieee_div_zero 0
		.amdhsa_exception_fp_ieee_overflow 0
		.amdhsa_exception_fp_ieee_underflow 0
		.amdhsa_exception_fp_ieee_inexact 0
		.amdhsa_exception_int_div_zero 0
	.end_amdhsa_kernel
	.text
.Lfunc_end0:
	.size	fft_rtc_fwd_len1360_factors_17_5_16_wgs_255_tpt_85_halfLds_dp_ip_CI_unitstride_sbrr_C2R_dirReg, .Lfunc_end0-fft_rtc_fwd_len1360_factors_17_5_16_wgs_255_tpt_85_halfLds_dp_ip_CI_unitstride_sbrr_C2R_dirReg
                                        ; -- End function
	.section	.AMDGPU.csdata,"",@progbits
; Kernel info:
; codeLenInByte = 16224
; NumSgprs: 56
; NumVgprs: 227
; ScratchSize: 0
; MemoryBound: 0
; FloatMode: 240
; IeeeMode: 1
; LDSByteSize: 0 bytes/workgroup (compile time only)
; SGPRBlocks: 6
; VGPRBlocks: 28
; NumSGPRsForWavesPerEU: 56
; NumVGPRsForWavesPerEU: 227
; Occupancy: 4
; WaveLimiterHint : 1
; COMPUTE_PGM_RSRC2:SCRATCH_EN: 0
; COMPUTE_PGM_RSRC2:USER_SGPR: 6
; COMPUTE_PGM_RSRC2:TRAP_HANDLER: 0
; COMPUTE_PGM_RSRC2:TGID_X_EN: 1
; COMPUTE_PGM_RSRC2:TGID_Y_EN: 0
; COMPUTE_PGM_RSRC2:TGID_Z_EN: 0
; COMPUTE_PGM_RSRC2:TIDIG_COMP_CNT: 0
	.text
	.p2alignl 6, 3214868480
	.fill 48, 4, 3214868480
	.type	__hip_cuid_3de3a2bcbe8a8c7e,@object ; @__hip_cuid_3de3a2bcbe8a8c7e
	.section	.bss,"aw",@nobits
	.globl	__hip_cuid_3de3a2bcbe8a8c7e
__hip_cuid_3de3a2bcbe8a8c7e:
	.byte	0                               ; 0x0
	.size	__hip_cuid_3de3a2bcbe8a8c7e, 1

	.ident	"AMD clang version 19.0.0git (https://github.com/RadeonOpenCompute/llvm-project roc-6.4.0 25133 c7fe45cf4b819c5991fe208aaa96edf142730f1d)"
	.section	".note.GNU-stack","",@progbits
	.addrsig
	.addrsig_sym __hip_cuid_3de3a2bcbe8a8c7e
	.amdgpu_metadata
---
amdhsa.kernels:
  - .args:
      - .actual_access:  read_only
        .address_space:  global
        .offset:         0
        .size:           8
        .value_kind:     global_buffer
      - .offset:         8
        .size:           8
        .value_kind:     by_value
      - .actual_access:  read_only
        .address_space:  global
        .offset:         16
        .size:           8
        .value_kind:     global_buffer
      - .actual_access:  read_only
        .address_space:  global
        .offset:         24
        .size:           8
        .value_kind:     global_buffer
      - .offset:         32
        .size:           8
        .value_kind:     by_value
      - .actual_access:  read_only
        .address_space:  global
        .offset:         40
        .size:           8
        .value_kind:     global_buffer
      - .actual_access:  read_only
        .address_space:  global
        .offset:         48
        .size:           8
        .value_kind:     global_buffer
      - .offset:         56
        .size:           4
        .value_kind:     by_value
      - .actual_access:  read_only
        .address_space:  global
        .offset:         64
        .size:           8
        .value_kind:     global_buffer
      - .actual_access:  read_only
        .address_space:  global
        .offset:         72
        .size:           8
        .value_kind:     global_buffer
      - .address_space:  global
        .offset:         80
        .size:           8
        .value_kind:     global_buffer
    .group_segment_fixed_size: 0
    .kernarg_segment_align: 8
    .kernarg_segment_size: 88
    .language:       OpenCL C
    .language_version:
      - 2
      - 0
    .max_flat_workgroup_size: 255
    .name:           fft_rtc_fwd_len1360_factors_17_5_16_wgs_255_tpt_85_halfLds_dp_ip_CI_unitstride_sbrr_C2R_dirReg
    .private_segment_fixed_size: 0
    .sgpr_count:     56
    .sgpr_spill_count: 0
    .symbol:         fft_rtc_fwd_len1360_factors_17_5_16_wgs_255_tpt_85_halfLds_dp_ip_CI_unitstride_sbrr_C2R_dirReg.kd
    .uniform_work_group_size: 1
    .uses_dynamic_stack: false
    .vgpr_count:     227
    .vgpr_spill_count: 0
    .wavefront_size: 32
    .workgroup_processor_mode: 1
amdhsa.target:   amdgcn-amd-amdhsa--gfx1030
amdhsa.version:
  - 1
  - 2
...

	.end_amdgpu_metadata
